;; amdgpu-corpus repo=ROCm/rocFFT kind=compiled arch=gfx1201 opt=O3
	.text
	.amdgcn_target "amdgcn-amd-amdhsa--gfx1201"
	.amdhsa_code_object_version 6
	.protected	bluestein_single_back_len289_dim1_sp_op_CI_CI ; -- Begin function bluestein_single_back_len289_dim1_sp_op_CI_CI
	.globl	bluestein_single_back_len289_dim1_sp_op_CI_CI
	.p2align	8
	.type	bluestein_single_back_len289_dim1_sp_op_CI_CI,@function
bluestein_single_back_len289_dim1_sp_op_CI_CI: ; @bluestein_single_back_len289_dim1_sp_op_CI_CI
; %bb.0:
	s_load_b128 s[12:15], s[0:1], 0x28
	v_mul_u32_u24_e32 v1, 0xf10, v0
	s_mov_b32 s2, exec_lo
	s_delay_alu instid0(VALU_DEP_1) | instskip(NEXT) | instid1(VALU_DEP_1)
	v_lshrrev_b32_e32 v1, 16, v1
	v_mad_co_u64_u32 v[62:63], null, ttmp9, 7, v[1:2]
	v_mov_b32_e32 v63, 0
	s_wait_kmcnt 0x0
	s_delay_alu instid0(VALU_DEP_1)
	v_cmpx_gt_u64_e64 s[12:13], v[62:63]
	s_cbranch_execz .LBB0_2
; %bb.1:
	s_clause 0x1
	s_load_b128 s[4:7], s[0:1], 0x18
	s_load_b128 s[8:11], s[0:1], 0x0
	v_mul_lo_u16 v1, v1, 17
	v_mul_hi_u32 v36, 0x24924925, v62
	s_load_b64 s[0:1], s[0:1], 0x38
	s_delay_alu instid0(VALU_DEP_2) | instskip(NEXT) | instid1(VALU_DEP_2)
	v_sub_nc_u16 v35, v0, v1
	v_sub_nc_u32_e32 v37, v62, v36
	s_delay_alu instid0(VALU_DEP_2) | instskip(NEXT) | instid1(VALU_DEP_2)
	v_and_b32_e32 v89, 0xffff, v35
	v_lshrrev_b32_e32 v37, 1, v37
	s_wait_kmcnt 0x0
	s_load_b128 s[16:19], s[4:5], 0x0
	s_wait_kmcnt 0x0
	v_mad_co_u64_u32 v[0:1], null, s18, v62, 0
	v_mad_co_u64_u32 v[2:3], null, s16, v89, 0
	s_mul_u64 s[2:3], s[16:17], 0x88
	s_delay_alu instid0(VALU_DEP_1) | instskip(NEXT) | instid1(VALU_DEP_1)
	v_mad_co_u64_u32 v[4:5], null, s19, v62, v[1:2]
	v_dual_mov_b32 v1, v4 :: v_dual_lshlrev_b32 v34, 3, v89
	s_clause 0x2
	global_load_b64 v[83:84], v34, s[8:9]
	global_load_b64 v[85:86], v34, s[8:9] offset:136
	global_load_b64 v[77:78], v34, s[8:9] offset:272
	v_add_nc_u32_e32 v36, v37, v36
	v_mad_co_u64_u32 v[5:6], null, s17, v89, v[3:4]
	v_lshlrev_b64_e32 v[0:1], 3, v[0:1]
	s_clause 0x1
	global_load_b64 v[81:82], v34, s[8:9] offset:408
	global_load_b64 v[75:76], v34, s[8:9] offset:544
	v_lshrrev_b32_e32 v36, 2, v36
	s_clause 0x8
	global_load_b64 v[79:80], v34, s[8:9] offset:680
	global_load_b64 v[73:74], v34, s[8:9] offset:816
	;; [unrolled: 1-line block ×9, first 2 shown]
	v_add_co_u32 v0, vcc_lo, s14, v0
	v_mul_lo_u32 v36, v36, 7
	v_add_co_ci_u32_e32 v1, vcc_lo, s15, v1, vcc_lo
	global_load_b64 v[58:59], v34, s[8:9] offset:1904
	v_sub_nc_u32_e32 v36, v62, v36
	s_delay_alu instid0(VALU_DEP_1) | instskip(NEXT) | instid1(VALU_DEP_1)
	v_mul_u32_u24_e32 v36, 0x121, v36
	v_dual_mov_b32 v3, v5 :: v_dual_lshlrev_b32 v36, 3, v36
	s_delay_alu instid0(VALU_DEP_1) | instskip(NEXT) | instid1(VALU_DEP_1)
	v_lshlrev_b64_e32 v[2:3], 3, v[2:3]
	v_add_co_u32 v0, vcc_lo, v0, v2
	s_wait_alu 0xfffd
	s_delay_alu instid0(VALU_DEP_2) | instskip(NEXT) | instid1(VALU_DEP_2)
	v_add_co_ci_u32_e32 v1, vcc_lo, v1, v3, vcc_lo
	v_add_co_u32 v2, vcc_lo, v0, s2
	s_wait_alu 0xfffd
	s_delay_alu instid0(VALU_DEP_2)
	v_add_co_ci_u32_e32 v3, vcc_lo, s3, v1, vcc_lo
	global_load_b64 v[0:1], v[0:1], off
	v_add_co_u32 v4, vcc_lo, v2, s2
	s_wait_alu 0xfffd
	v_add_co_ci_u32_e32 v5, vcc_lo, s3, v3, vcc_lo
	global_load_b64 v[2:3], v[2:3], off
	v_add_co_u32 v6, vcc_lo, v4, s2
	s_wait_alu 0xfffd
	;; [unrolled: 4-line block ×15, first 2 shown]
	v_add_co_ci_u32_e32 v33, vcc_lo, s3, v31, vcc_lo
	global_load_b64 v[67:68], v34, s[8:9] offset:2040
	global_load_b64 v[30:31], v[30:31], off
	global_load_b64 v[71:72], v34, s[8:9] offset:2176
	global_load_b64 v[32:33], v[32:33], off
	s_load_b128 s[4:7], s[6:7], 0x0
	s_add_nc_u64 s[2:3], s[8:9], 0x908
	s_wait_loadcnt 0x12
	v_mul_f32_e32 v37, v1, v84
	s_wait_loadcnt 0x11
	v_dual_mul_f32 v38, v0, v84 :: v_dual_mul_f32 v39, v3, v86
	s_delay_alu instid0(VALU_DEP_1) | instskip(SKIP_2) | instid1(VALU_DEP_3)
	v_fma_f32 v38, v1, v83, -v38
	v_mul_f32_e32 v1, v2, v86
	s_wait_loadcnt 0xf
	v_dual_fmac_f32 v39, v2, v85 :: v_dual_mul_f32 v2, v7, v82
	v_dual_fmac_f32 v37, v0, v83 :: v_dual_add_nc_u32 v90, v34, v36
	v_mul_f32_e32 v0, v5, v78
	s_delay_alu instid0(VALU_DEP_3) | instskip(SKIP_1) | instid1(VALU_DEP_3)
	v_dual_mul_f32 v41, v4, v78 :: v_dual_fmac_f32 v2, v6, v81
	v_mul_f32_e32 v42, v6, v82
	v_fmac_f32_e32 v0, v4, v77
	v_fma_f32 v40, v3, v85, -v1
	s_delay_alu instid0(VALU_DEP_4)
	v_fma_f32 v1, v5, v77, -v41
	s_wait_loadcnt 0xe
	v_mul_f32_e32 v5, v8, v76
	v_fma_f32 v3, v7, v81, -v42
	v_mul_f32_e32 v4, v9, v76
	ds_store_2addr_b64 v90, v[37:38], v[39:40] offset1:17
	s_wait_loadcnt 0xd
	v_mul_f32_e32 v6, v11, v80
	v_fma_f32 v5, v9, v75, -v5
	ds_store_2addr_b64 v90, v[0:1], v[2:3] offset0:34 offset1:51
	s_wait_loadcnt 0xc
	v_dual_mul_f32 v1, v10, v80 :: v_dual_mul_f32 v0, v13, v74
	v_mul_f32_e32 v3, v12, v74
	v_fmac_f32_e32 v4, v8, v75
	s_wait_loadcnt 0xb
	v_mul_f32_e32 v2, v15, v66
	v_mul_f32_e32 v8, v14, v66
	v_fma_f32 v7, v11, v79, -v1
	v_fmac_f32_e32 v0, v12, v73
	v_fma_f32 v1, v13, v73, -v3
	v_fmac_f32_e32 v2, v14, v65
	v_fma_f32 v3, v15, v65, -v8
	s_wait_loadcnt 0xa
	v_dual_mul_f32 v9, v16, v70 :: v_dual_fmac_f32 v6, v10, v79
	v_mul_f32_e32 v8, v17, v70
	s_delay_alu instid0(VALU_DEP_2)
	v_fma_f32 v9, v17, v69, -v9
	s_wait_loadcnt 0x5
	v_mul_f32_e32 v11, v26, v57
	v_mul_f32_e32 v10, v27, v57
	v_fmac_f32_e32 v8, v16, v69
	s_wait_loadcnt 0x4
	v_mul_f32_e32 v13, v28, v59
	v_mul_f32_e32 v12, v29, v59
	v_fmac_f32_e32 v10, v26, v56
	s_wait_loadcnt 0x2
	v_mul_f32_e32 v15, v30, v68
	ds_store_2addr_b64 v90, v[0:1], v[2:3] offset0:102 offset1:119
	v_mul_f32_e32 v1, v18, v55
	v_mul_f32_e32 v3, v20, v61
	ds_store_2addr_b64 v90, v[4:5], v[6:7] offset0:68 offset1:85
	v_dual_mul_f32 v7, v22, v64 :: v_dual_mul_f32 v4, v19, v55
	s_wait_loadcnt 0x0
	v_dual_mul_f32 v17, v32, v72 :: v_dual_mul_f32 v0, v21, v61
	v_mul_f32_e32 v2, v23, v64
	v_fma_f32 v5, v19, v54, -v1
	v_fma_f32 v1, v21, v60, -v3
	v_mul_f32_e32 v6, v25, v53
	v_fma_f32 v3, v23, v63, -v7
	v_dual_mul_f32 v7, v24, v53 :: v_dual_mul_f32 v14, v31, v68
	v_mul_f32_e32 v16, v33, v72
	v_fmac_f32_e32 v4, v18, v54
	v_fmac_f32_e32 v0, v20, v60
	;; [unrolled: 1-line block ×4, first 2 shown]
	v_fma_f32 v7, v25, v52, -v7
	v_fma_f32 v11, v27, v56, -v11
	v_fmac_f32_e32 v12, v28, v58
	v_fma_f32 v13, v29, v58, -v13
	v_fmac_f32_e32 v14, v30, v67
	v_fma_f32 v15, v31, v67, -v15
	v_fmac_f32_e32 v16, v32, v71
	v_fma_f32 v17, v33, v71, -v17
	ds_store_2addr_b64 v90, v[8:9], v[4:5] offset0:136 offset1:153
	ds_store_2addr_b64 v90, v[0:1], v[2:3] offset0:170 offset1:187
	;; [unrolled: 1-line block ×4, first 2 shown]
	ds_store_b64 v90, v[16:17] offset:2176
	global_wb scope:SCOPE_SE
	s_wait_dscnt 0x0
	s_wait_kmcnt 0x0
	s_barrier_signal -1
	s_barrier_wait -1
	global_inv scope:SCOPE_SE
	ds_load_2addr_b64 v[24:27], v90 offset1:17
	ds_load_b64 v[32:33], v90 offset:2176
	ds_load_2addr_b64 v[28:31], v90 offset0:34 offset1:51
	ds_load_2addr_b64 v[20:23], v90 offset0:238 offset1:255
	;; [unrolled: 1-line block ×7, first 2 shown]
	global_wb scope:SCOPE_SE
	s_wait_dscnt 0x0
	s_barrier_signal -1
	s_barrier_wait -1
	global_inv scope:SCOPE_SE
	v_add_f32_e32 v39, v24, v26
	v_sub_f32_e32 v43, v26, v32
	v_dual_add_f32 v37, v32, v26 :: v_dual_sub_f32 v48, v29, v23
	v_dual_sub_f32 v44, v27, v33 :: v_dual_add_f32 v41, v22, v28
	v_sub_f32_e32 v47, v28, v22
	v_sub_f32_e32 v87, v31, v21
	s_delay_alu instid0(VALU_DEP_4) | instskip(NEXT) | instid1(VALU_DEP_4)
	v_dual_mul_f32 v103, 0xbf2c7751, v48 :: v_dual_add_f32 v40, v25, v27
	v_dual_mul_f32 v95, 0xbf7ee86f, v44 :: v_dual_add_f32 v38, v33, v27
	v_mul_f32_e32 v97, 0xbf763a35, v44
	v_mul_f32_e32 v93, 0xbf65296c, v44
	v_dual_mul_f32 v101, 0xbf06c442, v44 :: v_dual_sub_f32 v50, v13, v19
	v_mul_f32_e32 v107, 0xbf4c4adb, v48
	v_mul_f32_e32 v94, 0xbf65296c, v43
	v_dual_add_f32 v42, v23, v29 :: v_dual_mul_f32 v99, 0xbf4c4adb, v44
	v_dual_add_f32 v28, v39, v28 :: v_dual_mul_f32 v119, 0xbf4c4adb, v87
	v_mul_f32_e32 v39, 0xbeb8f4ab, v44
	v_mul_f32_e32 v91, 0xbf2c7751, v44
	v_dual_mul_f32 v44, 0xbe3c28d5, v44 :: v_dual_mul_f32 v133, 0xbe3c28d5, v50
	v_mul_f32_e32 v139, 0xbf65296c, v50
	v_fma_f32 v143, 0x3ee437d1, v37, -v93
	v_dual_fmamk_f32 v144, v38, 0x3ee437d1, v94 :: v_dual_fmac_f32 v93, 0x3ee437d1, v37
	v_mul_f32_e32 v92, 0xbf2c7751, v43
	v_fma_f32 v145, 0x3dbcf732, v37, -v95
	v_mul_f32_e32 v98, 0xbf763a35, v43
	v_dual_add_f32 v46, v20, v30 :: v_dual_mul_f32 v105, 0xbf7ee86f, v48
	v_sub_f32_e32 v51, v30, v20
	v_dual_sub_f32 v49, v12, v18 :: v_dual_sub_f32 v88, v15, v17
	v_mul_f32_e32 v109, 0xbe3c28d5, v48
	v_add_f32_e32 v29, v40, v29
	v_fma_f32 v141, 0x3f3d2fb0, v37, -v91
	v_mul_f32_e32 v40, 0xbeb8f4ab, v43
	v_fma_f32 v147, 0xbe8c1d8e, v37, -v97
	v_fmac_f32_e32 v97, 0xbe8c1d8e, v37
	v_mul_f32_e32 v100, 0xbf4c4adb, v43
	v_fma_f32 v153, 0xbf7ba420, v37, -v44
	v_dual_mul_f32 v106, 0xbf7ee86f, v47 :: v_dual_add_f32 v93, v24, v93
	v_dual_fmamk_f32 v142, v38, 0x3f3d2fb0, v92 :: v_dual_fmac_f32 v91, 0x3f3d2fb0, v37
	v_dual_add_f32 v145, v24, v145 :: v_dual_fmamk_f32 v148, v38, 0xbe8c1d8e, v98
	v_dual_add_f32 v45, v21, v31 :: v_dual_add_f32 v26, v18, v12
	v_mul_f32_e32 v117, 0xbf65296c, v87
	v_dual_add_f32 v27, v19, v13 :: v_dual_mul_f32 v96, 0xbf7ee86f, v43
	v_mul_f32_e32 v131, 0xbf7ee86f, v50
	v_dual_mul_f32 v111, 0x3f06c442, v48 :: v_dual_mul_f32 v112, 0x3f06c442, v47
	v_dual_mul_f32 v121, 0x3e3c28d5, v87 :: v_dual_add_f32 v28, v28, v30
	v_dual_mul_f32 v123, 0x3f763a35, v87 :: v_dual_mul_f32 v136, 0x3f763a35, v49
	v_dual_mul_f32 v129, 0xbf7ee86f, v87 :: v_dual_mul_f32 v132, 0xbf7ee86f, v49
	v_dual_mul_f32 v134, 0xbe3c28d5, v49 :: v_dual_add_f32 v29, v29, v31
	v_fma_f32 v30, 0x3f6eb680, v37, -v39
	v_mul_f32_e32 v125, 0x3f2c7751, v87
	v_fma_f32 v94, 0x3ee437d1, v38, -v94
	v_fmac_f32_e32 v39, 0x3f6eb680, v37
	v_fma_f32 v149, 0xbf1a4643, v37, -v99
	v_mul_f32_e32 v102, 0xbf06c442, v43
	v_mul_f32_e32 v43, 0xbe3c28d5, v43
	v_fmac_f32_e32 v99, 0xbf1a4643, v37
	v_fma_f32 v155, 0x3dbcf732, v41, -v105
	v_add_f32_e32 v149, v24, v149
	v_fma_f32 v159, 0xbf7ba420, v41, -v109
	v_dual_mul_f32 v120, 0xbf4c4adb, v51 :: v_dual_add_f32 v141, v24, v141
	v_dual_fmamk_f32 v31, v38, 0x3f6eb680, v40 :: v_dual_add_f32 v144, v25, v144
	v_fma_f32 v40, 0x3f6eb680, v38, -v40
	v_mul_f32_e32 v127, 0xbeb8f4ab, v87
	v_dual_mul_f32 v87, 0xbf06c442, v87 :: v_dual_add_f32 v142, v25, v142
	v_dual_add_f32 v97, v24, v97 :: v_dual_fmamk_f32 v150, v38, 0xbf1a4643, v100
	v_dual_add_f32 v153, v24, v153 :: v_dual_fmamk_f32 v156, v42, 0x3dbcf732, v106
	v_fmac_f32_e32 v105, 0x3dbcf732, v41
	v_dual_mul_f32 v110, 0xbe3c28d5, v47 :: v_dual_add_f32 v141, v155, v141
	v_dual_mul_f32 v113, 0x3f763a35, v48 :: v_dual_mul_f32 v114, 0x3f763a35, v47
	v_dual_mul_f32 v115, 0x3f65296c, v48 :: v_dual_mul_f32 v116, 0x3f65296c, v47
	;; [unrolled: 1-line block ×3, first 2 shown]
	v_dual_mul_f32 v122, 0x3e3c28d5, v51 :: v_dual_add_f32 v13, v29, v13
	v_dual_mul_f32 v124, 0x3f763a35, v51 :: v_dual_mul_f32 v135, 0x3f763a35, v50
	v_mul_f32_e32 v126, 0x3f2c7751, v51
	v_dual_mul_f32 v138, 0x3eb8f4ab, v49 :: v_dual_add_f32 v31, v25, v31
	v_fma_f32 v92, 0x3f3d2fb0, v38, -v92
	v_dual_fmamk_f32 v146, v38, 0x3dbcf732, v96 :: v_dual_fmac_f32 v95, 0x3dbcf732, v37
	v_fma_f32 v96, 0x3dbcf732, v38, -v96
	v_fma_f32 v98, 0xbe8c1d8e, v38, -v98
	v_fma_f32 v100, 0xbf1a4643, v38, -v100
	v_fma_f32 v151, 0xbf59a7d5, v37, -v101
	v_dual_fmamk_f32 v152, v38, 0xbf59a7d5, v102 :: v_dual_fmac_f32 v101, 0xbf59a7d5, v37
	v_mul_f32_e32 v104, 0xbf2c7751, v47
	v_fma_f32 v102, 0xbf59a7d5, v38, -v102
	v_dual_fmamk_f32 v154, v38, 0xbf7ba420, v43 :: v_dual_add_f32 v91, v24, v91
	v_fmac_f32_e32 v44, 0xbf7ba420, v37
	v_fma_f32 v37, 0xbf7ba420, v38, -v43
	v_mul_f32_e32 v108, 0xbf4c4adb, v47
	v_mul_f32_e32 v47, 0x3eb8f4ab, v47
	v_fma_f32 v38, 0x3f3d2fb0, v41, -v103
	v_fmac_f32_e32 v103, 0x3f3d2fb0, v41
	v_fma_f32 v157, 0xbf1a4643, v41, -v107
	v_fma_f32 v161, 0xbf59a7d5, v41, -v111
	v_dual_fmamk_f32 v162, v42, 0xbf59a7d5, v112 :: v_dual_fmac_f32 v111, 0xbf59a7d5, v41
	v_mul_f32_e32 v130, 0xbf7ee86f, v51
	v_add_f32_e32 v30, v24, v30
	v_add_f32_e32 v94, v25, v94
	v_dual_mul_f32 v140, 0xbf65296c, v49 :: v_dual_add_f32 v39, v24, v39
	v_dual_add_f32 v148, v25, v148 :: v_dual_add_f32 v99, v24, v99
	v_mul_f32_e32 v128, 0xbeb8f4ab, v51
	v_dual_fmamk_f32 v155, v27, 0x3dbcf732, v132 :: v_dual_add_f32 v142, v156, v142
	v_fma_f32 v156, 0xbf7ba420, v26, -v133
	v_dual_fmac_f32 v133, 0xbf7ba420, v26 :: v_dual_add_f32 v12, v28, v12
	v_add_f32_e32 v145, v159, v145
	v_dual_fmac_f32 v107, 0xbf1a4643, v41 :: v_dual_fmamk_f32 v170, v45, 0xbf1a4643, v120
	v_mul_f32_e32 v118, 0xbf65296c, v51
	v_dual_mul_f32 v51, 0xbf06c442, v51 :: v_dual_add_f32 v92, v25, v92
	v_fma_f32 v106, 0x3dbcf732, v42, -v106
	v_dual_fmamk_f32 v160, v42, 0xbf7ba420, v110 :: v_dual_fmac_f32 v109, 0xbf7ba420, v41
	v_fma_f32 v110, 0xbf7ba420, v42, -v110
	v_fma_f32 v112, 0xbf59a7d5, v42, -v112
	;; [unrolled: 1-line block ×3, first 2 shown]
	v_dual_fmamk_f32 v164, v42, 0xbe8c1d8e, v114 :: v_dual_fmac_f32 v113, 0xbe8c1d8e, v41
	v_fma_f32 v114, 0xbe8c1d8e, v42, -v114
	v_fma_f32 v165, 0x3ee437d1, v41, -v115
	v_dual_fmamk_f32 v166, v42, 0x3ee437d1, v116 :: v_dual_fmac_f32 v115, 0x3ee437d1, v41
	v_fma_f32 v116, 0x3ee437d1, v42, -v116
	v_fma_f32 v167, 0x3f6eb680, v41, -v48
	v_dual_fmamk_f32 v168, v42, 0x3f6eb680, v47 :: v_dual_add_f32 v143, v24, v143
	v_dual_fmac_f32 v48, 0x3f6eb680, v41 :: v_dual_add_f32 v95, v24, v95
	v_fma_f32 v41, 0x3f6eb680, v42, -v47
	v_fma_f32 v169, 0xbf1a4643, v46, -v119
	v_fmac_f32_e32 v119, 0xbf1a4643, v46
	v_fma_f32 v120, 0xbf1a4643, v45, -v120
	v_fma_f32 v171, 0xbf7ba420, v46, -v121
	v_dual_fmamk_f32 v172, v45, 0xbf7ba420, v122 :: v_dual_add_f32 v147, v24, v147
	v_fmac_f32_e32 v121, 0xbf7ba420, v46
	v_fma_f32 v122, 0xbf7ba420, v45, -v122
	v_fma_f32 v173, 0xbe8c1d8e, v46, -v123
	v_dual_fmamk_f32 v174, v45, 0xbe8c1d8e, v124 :: v_dual_fmac_f32 v123, 0xbe8c1d8e, v46
	v_fma_f32 v124, 0xbe8c1d8e, v45, -v124
	v_fma_f32 v175, 0x3f3d2fb0, v46, -v125
	v_dual_fmac_f32 v125, 0x3f3d2fb0, v46 :: v_dual_add_f32 v96, v25, v96
	v_add_f32_e32 v40, v25, v40
	v_fma_f32 v177, 0x3f6eb680, v46, -v127
	v_add_f32_e32 v146, v25, v146
	v_dual_add_f32 v98, v25, v98 :: v_dual_add_f32 v151, v24, v151
	v_dual_add_f32 v100, v25, v100 :: v_dual_fmac_f32 v127, 0x3f6eb680, v46
	v_dual_add_f32 v152, v25, v152 :: v_dual_add_f32 v101, v24, v101
	v_fmamk_f32 v43, v42, 0x3f3d2fb0, v104
	v_fma_f32 v104, 0x3f3d2fb0, v42, -v104
	v_add_f32_e32 v150, v25, v150
	v_dual_add_f32 v102, v25, v102 :: v_dual_add_f32 v39, v103, v39
	v_dual_add_f32 v154, v25, v154 :: v_dual_mul_f32 v103, 0x3f4c4adb, v49
	v_dual_add_f32 v24, v24, v44 :: v_dual_add_f32 v25, v25, v37
	v_fmamk_f32 v158, v42, 0xbf1a4643, v108
	v_fma_f32 v108, 0xbf1a4643, v42, -v108
	v_fma_f32 v42, 0x3ee437d1, v46, -v117
	v_dual_fmac_f32 v117, 0x3ee437d1, v46 :: v_dual_add_f32 v40, v104, v40
	v_fma_f32 v179, 0xbf59a7d5, v46, -v87
	v_dual_fmac_f32 v87, 0xbf59a7d5, v46 :: v_dual_add_f32 v92, v106, v92
	v_add_f32_e32 v30, v38, v30
	v_dual_mul_f32 v38, 0xbf06c442, v49 :: v_dual_add_f32 v91, v105, v91
	v_mul_f32_e32 v49, 0x3f2c7751, v49
	v_fmamk_f32 v176, v45, 0x3f3d2fb0, v126
	v_fma_f32 v126, 0x3f3d2fb0, v45, -v126
	v_add_f32_e32 v93, v107, v93
	v_fmamk_f32 v47, v45, 0x3ee437d1, v118
	v_fma_f32 v118, 0x3ee437d1, v45, -v118
	v_dual_fmamk_f32 v107, v27, 0x3f6eb680, v138 :: v_dual_add_f32 v12, v12, v14
	v_add_f32_e32 v29, v162, v148
	v_fmamk_f32 v37, v45, 0x3f6eb680, v128
	v_fma_f32 v44, 0x3f6eb680, v45, -v128
	v_fma_f32 v128, 0x3dbcf732, v46, -v129
	v_fmac_f32_e32 v129, 0x3dbcf732, v46
	v_dual_fmamk_f32 v46, v45, 0xbf59a7d5, v51 :: v_dual_add_f32 v97, v111, v97
	v_fmamk_f32 v178, v45, 0x3dbcf732, v130
	v_fma_f32 v130, 0x3dbcf732, v45, -v130
	v_fma_f32 v45, 0xbf59a7d5, v45, -v51
	v_dual_mul_f32 v51, 0xbf06c442, v50 :: v_dual_add_f32 v144, v158, v144
	v_add_f32_e32 v31, v43, v31
	v_dual_mul_f32 v43, 0x3f4c4adb, v50 :: v_dual_add_f32 v96, v110, v96
	v_dual_mul_f32 v50, 0x3f2c7751, v50 :: v_dual_add_f32 v143, v157, v143
	v_dual_fmamk_f32 v157, v27, 0xbe8c1d8e, v136 :: v_dual_add_f32 v146, v160, v146
	v_fma_f32 v160, 0xbf59a7d5, v26, -v51
	v_dual_fmac_f32 v51, 0xbf59a7d5, v26 :: v_dual_add_f32 v12, v12, v4
	v_dual_fmamk_f32 v105, v27, 0xbf7ba420, v134 :: v_dual_add_f32 v94, v108, v94
	v_fma_f32 v108, 0x3ee437d1, v26, -v139
	v_dual_fmac_f32 v139, 0x3ee437d1, v26 :: v_dual_add_f32 v24, v48, v24
	v_dual_add_f32 v147, v161, v147 :: v_dual_add_f32 v102, v116, v102
	v_dual_add_f32 v99, v113, v99 :: v_dual_add_f32 v48, v120, v92
	v_dual_add_f32 v113, v165, v151 :: v_dual_add_f32 v92, v172, v144
	v_add_f32_e32 v39, v117, v39
	v_dual_add_f32 v117, v173, v145 :: v_dual_add_f32 v12, v12, v6
	v_fma_f32 v106, 0xbe8c1d8e, v26, -v135
	v_dual_fmac_f32 v135, 0xbe8c1d8e, v26 :: v_dual_add_f32 v100, v114, v100
	v_add_f32_e32 v111, v163, v149
	v_add_f32_e32 v31, v47, v31
	v_dual_add_f32 v47, v119, v91 :: v_dual_add_f32 v102, v130, v102
	v_dual_add_f32 v119, v175, v147 :: v_dual_add_f32 v12, v12, v0
	;; [unrolled: 1-line block ×4, first 2 shown]
	s_delay_alu instid0(VALU_DEP_3) | instskip(SKIP_2) | instid1(VALU_DEP_2)
	v_dual_add_f32 v12, v12, v2 :: v_dual_fmamk_f32 v159, v27, 0x3ee437d1, v140
	v_dual_add_f32 v98, v112, v98 :: v_dual_add_f32 v101, v115, v101
	v_dual_add_f32 v94, v122, v94 :: v_dual_add_f32 v115, v167, v153
	;; [unrolled: 1-line block ×3, first 2 shown]
	s_delay_alu instid0(VALU_DEP_4)
	v_dual_add_f32 v99, v127, v99 :: v_dual_add_f32 v12, v12, v8
	v_fma_f32 v110, 0xbf1a4643, v26, -v43
	v_dual_fmac_f32 v43, 0xbf1a4643, v26 :: v_dual_add_f32 v40, v118, v40
	v_add_f32_e32 v118, v174, v146
	v_add_f32_e32 v44, v44, v100
	v_dual_add_f32 v100, v128, v113 :: v_dual_add_f32 v113, v179, v115
	v_dual_add_f32 v12, v12, v10 :: v_dual_add_f32 v13, v13, v7
	v_fma_f32 v104, 0x3dbcf732, v26, -v131
	v_fmac_f32_e32 v131, 0x3dbcf732, v26
	v_fma_f32 v132, 0x3dbcf732, v27, -v132
	s_delay_alu instid0(VALU_DEP_4) | instskip(SKIP_2) | instid1(VALU_DEP_3)
	v_dual_add_f32 v12, v12, v16 :: v_dual_add_f32 v95, v109, v95
	v_dual_add_f32 v112, v164, v150 :: v_dual_add_f32 v13, v13, v1
	;; [unrolled: 1-line block ×6, first 2 shown]
	v_add_f32_e32 v104, v108, v119
	s_delay_alu instid0(VALU_DEP_3) | instskip(SKIP_1) | instid1(VALU_DEP_4)
	v_dual_add_f32 v13, v13, v3 :: v_dual_add_f32 v18, v139, v97
	v_add_f32_e32 v25, v45, v25
	v_dual_add_f32 v45, v133, v47 :: v_dual_add_f32 v12, v12, v20
	s_delay_alu instid0(VALU_DEP_3) | instskip(SKIP_2) | instid1(VALU_DEP_3)
	v_add_f32_e32 v13, v13, v9
	v_dual_fmamk_f32 v161, v27, 0xbf1a4643, v103 :: v_dual_add_f32 v116, v168, v154
	v_fma_f32 v28, 0xbf1a4643, v27, -v103
	v_dual_add_f32 v12, v12, v22 :: v_dual_add_f32 v13, v13, v11
	v_fma_f32 v134, 0xbf7ba420, v27, -v134
	v_fma_f32 v136, 0xbe8c1d8e, v27, -v136
	s_delay_alu instid0(VALU_DEP_4)
	v_dual_add_f32 v28, v28, v102 :: v_dual_fmamk_f32 v109, v27, 0xbf59a7d5, v38
	v_fma_f32 v38, 0xbf59a7d5, v27, -v38
	v_dual_add_f32 v91, v171, v143 :: v_dual_add_f32 v46, v46, v116
	v_add_f32_e32 v37, v37, v112
	v_add_f32_e32 v101, v129, v101
	v_add_f32_e32 v13, v13, v17
	v_fma_f32 v158, 0x3f6eb680, v26, -v137
	v_dual_add_f32 v93, v121, v93 :: v_dual_add_f32 v24, v87, v24
	v_dual_add_f32 v29, v176, v29 :: v_dual_add_f32 v42, v105, v42
	v_add_f32_e32 v47, v134, v48
	v_add_f32_e32 v48, v106, v91
	;; [unrolled: 1-line block ×3, first 2 shown]
	v_dual_add_f32 v87, v157, v92 :: v_dual_add_f32 v92, v136, v94
	v_add_f32_e32 v15, v17, v15
	v_dual_add_f32 v37, v38, v44 :: v_dual_add_f32 v38, v43, v101
	v_dual_add_f32 v43, v16, v14 :: v_dual_sub_f32 v14, v14, v16
	v_add_f32_e32 v13, v13, v19
	v_dual_fmac_f32 v137, 0x3f6eb680, v26 :: v_dual_add_f32 v114, v166, v152
	v_fma_f32 v103, 0x3f3d2fb0, v26, -v50
	v_dual_add_f32 v91, v135, v93 :: v_dual_add_f32 v12, v12, v32
	v_dual_add_f32 v93, v158, v117 :: v_dual_mul_f32 v44, 0xbf763a35, v88
	v_dual_add_f32 v29, v159, v29 :: v_dual_fmac_f32 v50, 0x3f3d2fb0, v26
	v_fma_f32 v16, 0x3f3d2fb0, v27, -v49
	v_dual_mul_f32 v26, 0xbf763a35, v14 :: v_dual_add_f32 v13, v13, v21
	v_add_f32_e32 v94, v107, v118
	s_delay_alu instid0(VALU_DEP_3) | instskip(SKIP_1) | instid1(VALU_DEP_4)
	v_dual_add_f32 v21, v51, v99 :: v_dual_add_f32 v16, v16, v25
	v_fma_f32 v17, 0xbe8c1d8e, v43, -v44
	v_fmamk_f32 v25, v15, 0xbe8c1d8e, v26
	v_fmac_f32_e32 v44, 0xbe8c1d8e, v43
	v_fma_f32 v26, 0xbe8c1d8e, v15, -v26
	v_add_f32_e32 v13, v13, v23
	v_fma_f32 v138, 0x3f6eb680, v27, -v138
	v_fma_f32 v140, 0x3ee437d1, v27, -v140
	v_dual_add_f32 v41, v169, v141 :: v_dual_add_f32 v112, v178, v114
	s_delay_alu instid0(VALU_DEP_4) | instskip(SKIP_4) | instid1(VALU_DEP_4)
	v_dual_add_f32 v26, v26, v40 :: v_dual_add_f32 v13, v13, v33
	v_fmamk_f32 v33, v27, 0x3f3d2fb0, v49
	v_dual_add_f32 v31, v155, v31 :: v_dual_add_f32 v96, v138, v96
	v_add_f32_e32 v97, v160, v111
	v_dual_add_f32 v41, v156, v41 :: v_dual_add_f32 v22, v110, v100
	v_add_f32_e32 v27, v33, v46
	v_mul_f32_e32 v33, 0x3f06c442, v14
	v_dual_add_f32 v19, v140, v98 :: v_dual_add_f32 v24, v50, v24
	v_dual_mul_f32 v50, 0xbe3c28d5, v88 :: v_dual_mul_f32 v51, 0xbe3c28d5, v14
	s_delay_alu instid0(VALU_DEP_3) | instskip(SKIP_1) | instid1(VALU_DEP_2)
	v_dual_fmamk_f32 v40, v15, 0xbf59a7d5, v33 :: v_dual_add_f32 v95, v137, v95
	v_add_f32_e32 v32, v103, v113
	v_add_f32_e32 v40, v40, v42
	v_mul_f32_e32 v42, 0x3f2c7751, v14
	s_delay_alu instid0(VALU_DEP_1) | instskip(SKIP_3) | instid1(VALU_DEP_4)
	v_fmamk_f32 v46, v15, 0x3f3d2fb0, v42
	v_fma_f32 v42, 0x3f3d2fb0, v15, -v42
	v_dual_add_f32 v39, v44, v39 :: v_dual_mul_f32 v44, 0x3f2c7751, v88
	v_dual_add_f32 v17, v17, v30 :: v_dual_mul_f32 v30, 0x3f06c442, v88
	v_dual_add_f32 v23, v161, v112 :: v_dual_add_f32 v46, v46, v87
	s_delay_alu instid0(VALU_DEP_4) | instskip(NEXT) | instid1(VALU_DEP_3)
	v_dual_add_f32 v25, v25, v31 :: v_dual_add_f32 v42, v42, v92
	v_fma_f32 v31, 0xbf59a7d5, v43, -v30
	v_fmac_f32_e32 v30, 0xbf59a7d5, v43
	s_delay_alu instid0(VALU_DEP_2) | instskip(NEXT) | instid1(VALU_DEP_2)
	v_dual_mul_f32 v92, 0x3f7ee86f, v88 :: v_dual_add_f32 v31, v31, v41
	v_add_f32_e32 v30, v30, v45
	v_fma_f32 v41, 0x3f3d2fb0, v43, -v44
	v_fmac_f32_e32 v44, 0x3f3d2fb0, v43
	v_fma_f32 v87, 0xbf7ba420, v43, -v50
	v_fmac_f32_e32 v50, 0xbf7ba420, v43
	v_mul_f32_e32 v45, 0xbf65296c, v88
	v_dual_add_f32 v41, v41, v48 :: v_dual_mul_f32 v48, 0xbf65296c, v14
	v_add_f32_e32 v44, v44, v91
	v_fma_f32 v33, 0xbf59a7d5, v15, -v33
	v_add_f32_e32 v18, v50, v18
	v_mul_f32_e32 v50, 0xbeb8f4ab, v88
	v_fmamk_f32 v49, v15, 0x3ee437d1, v48
	v_fma_f32 v48, 0x3ee437d1, v15, -v48
	v_add_f32_e32 v33, v33, v47
	v_fma_f32 v47, 0x3ee437d1, v43, -v45
	s_delay_alu instid0(VALU_DEP_4) | instskip(SKIP_1) | instid1(VALU_DEP_3)
	v_dual_mul_f32 v88, 0xbf4c4adb, v88 :: v_dual_add_f32 v49, v49, v94
	v_fma_f32 v94, 0x3f6eb680, v43, -v50
	v_dual_fmac_f32 v50, 0x3f6eb680, v43 :: v_dual_add_f32 v47, v47, v93
	v_fmamk_f32 v91, v15, 0xbf7ba420, v51
	v_fma_f32 v51, 0xbf7ba420, v15, -v51
	v_mul_f32_e32 v93, 0x3f7ee86f, v14
	s_delay_alu instid0(VALU_DEP_4) | instskip(NEXT) | instid1(VALU_DEP_4)
	v_add_f32_e32 v38, v50, v38
	v_dual_sub_f32 v50, v5, v11 :: v_dual_add_f32 v29, v91, v29
	v_fma_f32 v91, 0x3dbcf732, v43, -v92
	v_dual_add_f32 v19, v51, v19 :: v_dual_add_f32 v48, v48, v96
	v_dual_add_f32 v87, v87, v104 :: v_dual_fmac_f32 v92, 0x3dbcf732, v43
	s_delay_alu instid0(VALU_DEP_3) | instskip(SKIP_4) | instid1(VALU_DEP_3)
	v_add_f32_e32 v51, v91, v97
	v_fmamk_f32 v91, v15, 0x3dbcf732, v93
	v_fmac_f32_e32 v45, 0x3ee437d1, v43
	v_fma_f32 v93, 0x3dbcf732, v15, -v93
	v_dual_add_f32 v21, v92, v21 :: v_dual_add_f32 v22, v94, v22
	v_dual_add_f32 v20, v91, v20 :: v_dual_add_f32 v45, v45, v95
	v_mul_f32_e32 v95, 0xbeb8f4ab, v14
	s_delay_alu instid0(VALU_DEP_4) | instskip(NEXT) | instid1(VALU_DEP_2)
	v_dual_mul_f32 v14, 0xbf4c4adb, v14 :: v_dual_add_f32 v37, v93, v37
	v_fmamk_f32 v91, v15, 0x3f6eb680, v95
	s_delay_alu instid0(VALU_DEP_2) | instskip(SKIP_1) | instid1(VALU_DEP_3)
	v_fmamk_f32 v93, v15, 0xbf1a4643, v14
	v_fma_f32 v14, 0xbf1a4643, v15, -v14
	v_add_f32_e32 v23, v91, v23
	v_fma_f32 v91, 0xbf1a4643, v43, -v88
	v_fmac_f32_e32 v88, 0xbf1a4643, v43
	s_delay_alu instid0(VALU_DEP_4) | instskip(SKIP_1) | instid1(VALU_DEP_4)
	v_add_f32_e32 v14, v14, v16
	v_mul_f32_e32 v16, 0x3f763a35, v50
	v_add_f32_e32 v32, v91, v32
	v_dual_add_f32 v91, v10, v4 :: v_dual_sub_f32 v4, v4, v10
	v_dual_mul_f32 v10, 0xbf4c4adb, v50 :: v_dual_add_f32 v5, v11, v5
	v_fma_f32 v92, 0x3f6eb680, v15, -v95
	v_add_f32_e32 v24, v88, v24
	s_delay_alu instid0(VALU_DEP_4) | instskip(NEXT) | instid1(VALU_DEP_4)
	v_mul_f32_e32 v11, 0xbf4c4adb, v4
	v_fma_f32 v15, 0xbf1a4643, v91, -v10
	v_fmac_f32_e32 v10, 0xbf1a4643, v91
	s_delay_alu instid0(VALU_DEP_3) | instskip(NEXT) | instid1(VALU_DEP_3)
	v_dual_add_f32 v28, v92, v28 :: v_dual_fmamk_f32 v43, v5, 0xbf1a4643, v11
	v_add_f32_e32 v15, v15, v17
	v_fma_f32 v17, 0xbe8c1d8e, v91, -v16
	v_fmac_f32_e32 v16, 0xbe8c1d8e, v91
	s_delay_alu instid0(VALU_DEP_4) | instskip(SKIP_1) | instid1(VALU_DEP_3)
	v_dual_add_f32 v10, v10, v39 :: v_dual_add_f32 v25, v43, v25
	v_mul_f32_e32 v43, 0x3f763a35, v4
	v_dual_add_f32 v17, v17, v31 :: v_dual_add_f32 v16, v16, v30
	v_add_f32_e32 v27, v93, v27
	s_delay_alu instid0(VALU_DEP_3) | instskip(SKIP_1) | instid1(VALU_DEP_2)
	v_fma_f32 v39, 0xbe8c1d8e, v5, -v43
	v_fmamk_f32 v31, v5, 0xbe8c1d8e, v43
	v_dual_mul_f32 v43, 0xbeb8f4ab, v4 :: v_dual_add_f32 v30, v39, v33
	v_fma_f32 v11, 0xbf1a4643, v5, -v11
	s_delay_alu instid0(VALU_DEP_2) | instskip(NEXT) | instid1(VALU_DEP_2)
	v_fmamk_f32 v33, v5, 0x3f6eb680, v43
	v_add_f32_e32 v11, v11, v26
	v_mul_f32_e32 v26, 0xbeb8f4ab, v50
	s_delay_alu instid0(VALU_DEP_1) | instskip(NEXT) | instid1(VALU_DEP_1)
	v_fma_f32 v88, 0x3f6eb680, v91, -v26
	v_dual_fmac_f32 v26, 0x3f6eb680, v91 :: v_dual_add_f32 v39, v88, v41
	v_fma_f32 v41, 0x3f6eb680, v5, -v43
	v_mul_f32_e32 v43, 0xbf06c442, v4
	s_delay_alu instid0(VALU_DEP_2) | instskip(NEXT) | instid1(VALU_DEP_2)
	v_dual_add_f32 v26, v26, v44 :: v_dual_add_f32 v41, v41, v42
	v_fmamk_f32 v44, v5, 0xbf59a7d5, v43
	v_mul_f32_e32 v42, 0x3f7ee86f, v50
	v_add_f32_e32 v33, v33, v46
	v_fma_f32 v43, 0xbf59a7d5, v5, -v43
	s_delay_alu instid0(VALU_DEP_4) | instskip(SKIP_2) | instid1(VALU_DEP_4)
	v_dual_add_f32 v44, v44, v49 :: v_dual_add_f32 v31, v31, v40
	v_mul_f32_e32 v40, 0xbf06c442, v50
	v_mul_f32_e32 v49, 0x3f7ee86f, v4
	v_add_f32_e32 v43, v43, v48
	s_delay_alu instid0(VALU_DEP_3) | instskip(NEXT) | instid1(VALU_DEP_3)
	v_fma_f32 v46, 0xbf59a7d5, v91, -v40
	v_fmamk_f32 v48, v5, 0x3dbcf732, v49
	v_fmac_f32_e32 v40, 0xbf59a7d5, v91
	v_fma_f32 v49, 0x3dbcf732, v5, -v49
	s_delay_alu instid0(VALU_DEP_4) | instskip(SKIP_1) | instid1(VALU_DEP_4)
	v_add_f32_e32 v46, v46, v47
	v_fma_f32 v47, 0x3dbcf732, v91, -v42
	v_add_f32_e32 v40, v40, v45
	v_dual_fmac_f32 v42, 0x3dbcf732, v91 :: v_dual_add_f32 v29, v48, v29
	v_add_f32_e32 v19, v49, v19
	s_delay_alu instid0(VALU_DEP_4) | instskip(SKIP_1) | instid1(VALU_DEP_4)
	v_add_f32_e32 v45, v47, v87
	v_mul_f32_e32 v47, 0xbf2c7751, v50
	v_dual_mul_f32 v87, 0xbf2c7751, v4 :: v_dual_add_f32 v18, v42, v18
	s_delay_alu instid0(VALU_DEP_2) | instskip(NEXT) | instid1(VALU_DEP_2)
	v_fma_f32 v88, 0x3f3d2fb0, v91, -v47
	v_fmamk_f32 v42, v5, 0x3f3d2fb0, v87
	v_fmac_f32_e32 v47, 0x3f3d2fb0, v91
	s_delay_alu instid0(VALU_DEP_3) | instskip(SKIP_1) | instid1(VALU_DEP_4)
	v_add_f32_e32 v48, v88, v51
	v_fma_f32 v51, 0x3f3d2fb0, v5, -v87
	v_add_f32_e32 v20, v42, v20
	s_delay_alu instid0(VALU_DEP_4) | instskip(SKIP_1) | instid1(VALU_DEP_4)
	v_dual_mul_f32 v42, 0xbe3c28d5, v4 :: v_dual_add_f32 v21, v47, v21
	v_mul_f32_e32 v47, 0x3f65296c, v50
	v_dual_add_f32 v37, v51, v37 :: v_dual_mul_f32 v4, 0x3f65296c, v4
	s_delay_alu instid0(VALU_DEP_2) | instskip(SKIP_3) | instid1(VALU_DEP_4)
	v_fma_f32 v51, 0x3ee437d1, v91, -v47
	v_mul_f32_e32 v49, 0xbe3c28d5, v50
	v_fmamk_f32 v50, v5, 0xbf7ba420, v42
	v_fma_f32 v42, 0xbf7ba420, v5, -v42
	v_add_f32_e32 v32, v51, v32
	s_delay_alu instid0(VALU_DEP_4) | instskip(NEXT) | instid1(VALU_DEP_3)
	v_fma_f32 v87, 0xbf7ba420, v91, -v49
	v_dual_fmac_f32 v49, 0xbf7ba420, v91 :: v_dual_add_f32 v28, v42, v28
	v_dual_sub_f32 v42, v7, v9 :: v_dual_add_f32 v23, v50, v23
	v_sub_f32_e32 v50, v6, v8
	v_add_f32_e32 v6, v8, v6
	s_delay_alu instid0(VALU_DEP_4) | instskip(NEXT) | instid1(VALU_DEP_4)
	v_add_f32_e32 v38, v49, v38
	v_mul_f32_e32 v8, 0xbf06c442, v42
	v_fmamk_f32 v49, v5, 0x3ee437d1, v4
	v_fma_f32 v4, 0x3ee437d1, v5, -v4
	v_add_f32_e32 v5, v9, v7
	v_mul_f32_e32 v7, 0xbf06c442, v50
	v_add_f32_e32 v22, v87, v22
	s_delay_alu instid0(VALU_DEP_4) | instskip(NEXT) | instid1(VALU_DEP_3)
	v_dual_add_f32 v87, v3, v1 :: v_dual_add_f32 v4, v4, v14
	v_fmamk_f32 v14, v5, 0xbf59a7d5, v7
	s_delay_alu instid0(VALU_DEP_1) | instskip(NEXT) | instid1(VALU_DEP_1)
	v_dual_add_f32 v14, v14, v25 :: v_dual_fmac_f32 v47, 0x3ee437d1, v91
	v_dual_add_f32 v24, v47, v24 :: v_dual_mul_f32 v47, 0x3f65296c, v42
	v_add_f32_e32 v9, v49, v27
	v_fma_f32 v27, 0xbf59a7d5, v6, -v8
	v_fmac_f32_e32 v8, 0xbf59a7d5, v6
	v_mul_f32_e32 v49, 0xbf7ee86f, v50
	v_fma_f32 v25, 0x3ee437d1, v6, -v47
	v_fmac_f32_e32 v47, 0x3ee437d1, v6
	v_add_f32_e32 v15, v27, v15
	v_mul_f32_e32 v27, 0x3f65296c, v50
	v_add_f32_e32 v8, v8, v10
	v_mul_f32_e32 v10, 0xbf7ee86f, v42
	v_add_f32_e32 v16, v47, v16
	v_fma_f32 v7, 0xbf59a7d5, v5, -v7
	v_mul_f32_e32 v47, 0x3f4c4adb, v50
	s_delay_alu instid0(VALU_DEP_2)
	v_add_f32_e32 v7, v7, v11
	v_add_f32_e32 v11, v25, v17
	v_fmamk_f32 v17, v5, 0x3ee437d1, v27
	v_fma_f32 v25, 0x3ee437d1, v5, -v27
	v_fma_f32 v27, 0x3dbcf732, v6, -v10
	v_fmac_f32_e32 v10, 0x3dbcf732, v6
	s_delay_alu instid0(VALU_DEP_3) | instskip(NEXT) | instid1(VALU_DEP_3)
	v_add_f32_e32 v25, v25, v30
	v_add_f32_e32 v27, v27, v39
	v_fma_f32 v39, 0x3dbcf732, v5, -v49
	s_delay_alu instid0(VALU_DEP_4) | instskip(NEXT) | instid1(VALU_DEP_2)
	v_dual_add_f32 v10, v10, v26 :: v_dual_add_f32 v17, v17, v31
	v_dual_mul_f32 v31, 0x3f4c4adb, v42 :: v_dual_add_f32 v26, v39, v41
	v_fmamk_f32 v39, v5, 0xbf1a4643, v47
	v_mul_f32_e32 v41, 0xbeb8f4ab, v42
	s_delay_alu instid0(VALU_DEP_2) | instskip(NEXT) | instid1(VALU_DEP_2)
	v_add_f32_e32 v39, v39, v44
	v_fma_f32 v44, 0x3f6eb680, v6, -v41
	s_delay_alu instid0(VALU_DEP_1) | instskip(SKIP_2) | instid1(VALU_DEP_2)
	v_dual_fmac_f32 v41, 0x3f6eb680, v6 :: v_dual_add_f32 v44, v44, v45
	v_fmamk_f32 v30, v5, 0x3dbcf732, v49
	v_mul_f32_e32 v49, 0xbe3c28d5, v50
	v_dual_add_f32 v41, v41, v18 :: v_dual_add_f32 v30, v30, v33
	v_fma_f32 v33, 0xbf1a4643, v6, -v31
	v_fmac_f32_e32 v31, 0xbf1a4643, v6
	s_delay_alu instid0(VALU_DEP_4) | instskip(NEXT) | instid1(VALU_DEP_3)
	v_fmamk_f32 v18, v5, 0xbf7ba420, v49
	v_add_f32_e32 v33, v33, v46
	v_fma_f32 v46, 0xbf1a4643, v5, -v47
	v_mul_f32_e32 v47, 0xbeb8f4ab, v50
	s_delay_alu instid0(VALU_DEP_2) | instskip(SKIP_1) | instid1(VALU_DEP_3)
	v_dual_add_f32 v31, v31, v40 :: v_dual_add_f32 v40, v46, v43
	v_mul_f32_e32 v43, 0xbe3c28d5, v42
	v_fmamk_f32 v45, v5, 0x3f6eb680, v47
	v_fma_f32 v46, 0x3f6eb680, v5, -v47
	s_delay_alu instid0(VALU_DEP_3) | instskip(NEXT) | instid1(VALU_DEP_3)
	v_fma_f32 v47, 0xbf7ba420, v6, -v43
	v_add_f32_e32 v29, v45, v29
	s_delay_alu instid0(VALU_DEP_3) | instskip(SKIP_1) | instid1(VALU_DEP_4)
	v_add_f32_e32 v45, v46, v19
	v_mul_f32_e32 v19, 0x3f2c7751, v42
	v_dual_fmac_f32 v43, 0xbf7ba420, v6 :: v_dual_add_f32 v46, v47, v48
	v_fma_f32 v47, 0xbf7ba420, v5, -v49
	v_dual_mul_f32 v48, 0x3f2c7751, v50 :: v_dual_add_f32 v49, v18, v20
	s_delay_alu instid0(VALU_DEP_4) | instskip(NEXT) | instid1(VALU_DEP_4)
	v_fma_f32 v18, 0x3f3d2fb0, v6, -v19
	v_add_f32_e32 v43, v43, v21
	v_mul_f32_e32 v21, 0xbf763a35, v42
	s_delay_alu instid0(VALU_DEP_4) | instskip(NEXT) | instid1(VALU_DEP_4)
	v_dual_fmamk_f32 v20, v5, 0x3f3d2fb0, v48 :: v_dual_fmac_f32 v19, 0x3f3d2fb0, v6
	v_add_f32_e32 v42, v18, v22
	v_fma_f32 v18, 0x3f3d2fb0, v5, -v48
	v_mul_f32_e32 v22, 0xbf763a35, v50
	v_add_f32_e32 v50, v2, v0
	s_delay_alu instid0(VALU_DEP_3) | instskip(SKIP_1) | instid1(VALU_DEP_4)
	v_add_f32_e32 v48, v18, v28
	v_dual_sub_f32 v28, v1, v3 :: v_dual_sub_f32 v51, v0, v2
	v_fma_f32 v0, 0xbe8c1d8e, v5, -v22
	v_fmamk_f32 v18, v5, 0xbe8c1d8e, v22
	s_delay_alu instid0(VALU_DEP_3)
	v_dual_mul_f32 v2, 0xbe3c28d5, v28 :: v_dual_mul_f32 v1, 0xbe3c28d5, v51
	v_add_f32_e32 v37, v47, v37
	v_add_f32_e32 v47, v20, v23
	v_fma_f32 v20, 0xbe8c1d8e, v6, -v21
	v_fmac_f32_e32 v21, 0xbe8c1d8e, v6
	v_fma_f32 v3, 0xbf7ba420, v50, -v2
	v_add_f32_e32 v92, v0, v4
	v_fmamk_f32 v4, v87, 0xbf7ba420, v1
	v_mul_f32_e32 v6, 0x3eb8f4ab, v28
	v_fmac_f32_e32 v2, 0xbf7ba420, v50
	v_add_f32_e32 v0, v3, v15
	v_fma_f32 v3, 0xbf7ba420, v87, -v1
	v_add_f32_e32 v1, v4, v14
	v_fma_f32 v4, 0x3f6eb680, v50, -v6
	v_fmac_f32_e32 v6, 0x3f6eb680, v50
	s_delay_alu instid0(VALU_DEP_4) | instskip(SKIP_2) | instid1(VALU_DEP_4)
	v_dual_mul_f32 v14, 0xbf06c442, v28 :: v_dual_add_f32 v3, v3, v7
	v_add_f32_e32 v32, v20, v32
	v_add_f32_e32 v88, v18, v9
	;; [unrolled: 1-line block ×3, first 2 shown]
	v_mul_f32_e32 v16, 0x3f2c7751, v28
	v_mul_f32_e32 v5, 0x3eb8f4ab, v51
	v_dual_mul_f32 v15, 0x3f2c7751, v51 :: v_dual_add_f32 v2, v2, v8
	v_fma_f32 v9, 0xbf59a7d5, v50, -v14
	v_fmac_f32_e32 v14, 0xbf59a7d5, v50
	s_delay_alu instid0(VALU_DEP_4) | instskip(SKIP_3) | instid1(VALU_DEP_4)
	v_fmamk_f32 v7, v87, 0x3f6eb680, v5
	v_fma_f32 v8, 0x3f6eb680, v87, -v5
	v_fmamk_f32 v18, v87, 0x3f3d2fb0, v15
	v_mul_f32_e32 v20, 0xbf4c4adb, v28
	v_dual_add_f32 v10, v14, v10 :: v_dual_add_f32 v5, v7, v17
	v_fma_f32 v17, 0x3f3d2fb0, v50, -v16
	v_dual_fmac_f32 v16, 0x3f3d2fb0, v50 :: v_dual_add_f32 v7, v8, v25
	v_add_f32_e32 v4, v4, v11
	v_add_f32_e32 v8, v9, v27
	s_delay_alu instid0(VALU_DEP_4)
	v_add_f32_e32 v14, v17, v33
	v_fma_f32 v17, 0x3f3d2fb0, v87, -v15
	v_add_f32_e32 v15, v18, v39
	v_fma_f32 v18, 0xbf1a4643, v50, -v20
	v_fmac_f32_e32 v20, 0xbf1a4643, v50
	v_add_f32_e32 v16, v16, v31
	v_dual_add_f32 v38, v19, v38 :: v_dual_mul_f32 v19, 0xbf4c4adb, v51
	s_delay_alu instid0(VALU_DEP_4)
	v_add_f32_e32 v18, v18, v44
	v_add_f32_e32 v91, v21, v24
	v_mul_f32_e32 v24, 0x3f65296c, v28
	v_mul_f32_e32 v27, 0xbf763a35, v51
	v_fmamk_f32 v21, v87, 0xbf1a4643, v19
	v_fma_f32 v22, 0xbf1a4643, v87, -v19
	v_mul_f32_e32 v25, 0x3f65296c, v51
	v_fma_f32 v23, 0x3ee437d1, v50, -v24
	v_mul_f32_e32 v11, 0xbf06c442, v51
	v_add_f32_e32 v19, v21, v29
	v_add_f32_e32 v21, v22, v45
	s_delay_alu instid0(VALU_DEP_4) | instskip(NEXT) | instid1(VALU_DEP_4)
	v_dual_mul_f32 v29, 0xbf763a35, v28 :: v_dual_add_f32 v22, v23, v46
	v_fmamk_f32 v9, v87, 0xbf59a7d5, v11
	v_fma_f32 v11, 0xbf59a7d5, v87, -v11
	v_fma_f32 v31, 0xbe8c1d8e, v87, -v27
	v_mul_f32_e32 v33, 0x3f7ee86f, v28
	v_fmamk_f32 v23, v87, 0x3ee437d1, v25
	v_fma_f32 v25, 0x3ee437d1, v87, -v25
	v_add_f32_e32 v11, v11, v26
	v_fma_f32 v26, 0xbe8c1d8e, v50, -v29
	v_fmac_f32_e32 v29, 0xbe8c1d8e, v50
	v_dual_add_f32 v17, v17, v40 :: v_dual_fmac_f32 v24, 0x3ee437d1, v50
	s_delay_alu instid0(VALU_DEP_3) | instskip(SKIP_1) | instid1(VALU_DEP_4)
	v_dual_add_f32 v25, v25, v37 :: v_dual_add_f32 v26, v26, v42
	v_dual_add_f32 v9, v9, v30 :: v_dual_fmamk_f32 v30, v87, 0xbe8c1d8e, v27
	v_dual_add_f32 v28, v29, v38 :: v_dual_add_f32 v29, v31, v48
	v_mul_lo_u16 v31, v35, 17
	v_fma_f32 v35, 0x3dbcf732, v50, -v33
	s_delay_alu instid0(VALU_DEP_4) | instskip(SKIP_4) | instid1(VALU_DEP_4)
	v_add_f32_e32 v27, v30, v47
	v_mul_f32_e32 v30, 0x3f7ee86f, v51
	v_fmac_f32_e32 v33, 0x3dbcf732, v50
	v_and_b32_e32 v39, 0xffff, v31
	v_add_f32_e32 v23, v23, v49
	v_dual_add_f32 v20, v20, v41 :: v_dual_fmamk_f32 v37, v87, 0x3dbcf732, v30
	v_fma_f32 v38, 0x3dbcf732, v87, -v30
	v_add_f32_e32 v30, v35, v32
	v_add_f32_e32 v32, v33, v91
	v_lshl_add_u32 v91, v39, 3, v36
	v_add_f32_e32 v31, v37, v88
	v_dual_add_f32 v33, v38, v92 :: v_dual_add_f32 v24, v24, v43
	ds_store_2addr_b64 v91, v[12:13], v[0:1] offset1:1
	ds_store_2addr_b64 v91, v[4:5], v[8:9] offset0:2 offset1:3
	ds_store_2addr_b64 v91, v[14:15], v[18:19] offset0:4 offset1:5
	;; [unrolled: 1-line block ×7, first 2 shown]
	ds_store_b64 v91, v[2:3] offset:128
	v_lshlrev_b32_e32 v0, 7, v89
	global_wb scope:SCOPE_SE
	s_wait_dscnt 0x0
	s_barrier_signal -1
	s_barrier_wait -1
	global_inv scope:SCOPE_SE
	s_clause 0x7
	global_load_b128 v[28:31], v0, s[10:11]
	global_load_b128 v[24:27], v0, s[10:11] offset:16
	global_load_b128 v[20:23], v0, s[10:11] offset:32
	;; [unrolled: 1-line block ×7, first 2 shown]
	ds_load_2addr_b64 v[92:95], v90 offset1:17
	ds_load_2addr_b64 v[35:38], v90 offset0:34 offset1:51
	ds_load_2addr_b64 v[39:42], v90 offset0:68 offset1:85
	;; [unrolled: 1-line block ×7, first 2 shown]
	ds_load_b64 v[32:33], v90 offset:2176
	s_wait_loadcnt_dscnt 0x708
	v_mul_f32_e32 v43, v95, v29
	s_wait_dscnt 0x7
	v_mul_f32_e32 v116, v35, v31
	v_mul_f32_e32 v88, v94, v29
	s_wait_loadcnt 0x6
	v_mul_f32_e32 v44, v38, v25
	s_wait_loadcnt_dscnt 0x506
	v_mul_f32_e32 v47, v41, v21
	v_fma_f32 v94, v94, v28, -v43
	v_mul_f32_e32 v43, v36, v31
	v_fmac_f32_e32 v116, v36, v30
	v_mul_f32_e32 v36, v42, v21
	v_dual_fmac_f32 v88, v95, v28 :: v_dual_mul_f32 v95, v37, v25
	s_delay_alu instid0(VALU_DEP_4) | instskip(SKIP_1) | instid1(VALU_DEP_4)
	v_fma_f32 v117, v35, v30, -v43
	v_mul_f32_e32 v35, v40, v27
	v_fma_f32 v48, v41, v20, -v36
	v_add_f32_e32 v36, v92, v94
	v_fma_f32 v118, v37, v24, -v44
	v_fmac_f32_e32 v95, v38, v24
	v_fma_f32 v87, v39, v26, -v35
	v_fmac_f32_e32 v47, v42, v20
	s_wait_loadcnt_dscnt 0x404
	v_dual_add_f32 v41, v36, v117 :: v_dual_mul_f32 v38, v101, v7
	s_wait_loadcnt 0x3
	v_dual_mul_f32 v42, v103, v17 :: v_dual_mul_f32 v35, v97, v23
	v_add_f32_e32 v37, v93, v88
	s_delay_alu instid0(VALU_DEP_3) | instskip(SKIP_1) | instid1(VALU_DEP_4)
	v_add_f32_e32 v41, v41, v118
	v_fma_f32 v36, v100, v6, -v38
	v_fma_f32 v38, v102, v16, -v42
	s_wait_dscnt 0x3
	v_mul_f32_e32 v46, v105, v19
	v_fma_f32 v44, v96, v22, -v35
	v_dual_add_f32 v42, v41, v87 :: v_dual_mul_f32 v35, v99, v5
	v_add_f32_e32 v37, v37, v116
	v_mul_f32_e32 v41, v104, v19
	s_delay_alu instid0(VALU_DEP_3) | instskip(SKIP_2) | instid1(VALU_DEP_4)
	v_add_f32_e32 v49, v42, v48
	v_fma_f32 v42, v104, v18, -v46
	v_mul_f32_e32 v51, v39, v27
	v_fmac_f32_e32 v41, v105, v18
	s_wait_loadcnt_dscnt 0x0
	v_dual_mul_f32 v104, v33, v3 :: v_dual_mul_f32 v105, v114, v1
	v_add_f32_e32 v49, v49, v44
	v_fmac_f32_e32 v51, v40, v26
	v_fma_f32 v40, v98, v4, -v35
	v_mul_f32_e32 v35, v100, v7
	v_mul_f32_e32 v100, v113, v11
	v_add_f32_e32 v45, v37, v95
	v_mul_f32_e32 v37, v102, v17
	s_delay_alu instid0(VALU_DEP_4) | instskip(SKIP_1) | instid1(VALU_DEP_4)
	v_dual_mul_f32 v102, v115, v1 :: v_dual_fmac_f32 v35, v101, v6
	v_mul_f32_e32 v101, v112, v11
	v_add_f32_e32 v45, v45, v51
	s_delay_alu instid0(VALU_DEP_4) | instskip(NEXT) | instid1(VALU_DEP_4)
	v_fmac_f32_e32 v37, v103, v16
	v_fma_f32 v102, v114, v0, -v102
	v_mul_f32_e32 v103, v32, v3
	v_fma_f32 v32, v32, v2, -v104
	v_mul_f32_e32 v43, v96, v23
	v_fmac_f32_e32 v105, v115, v0
	v_mul_f32_e32 v39, v98, v5
	s_delay_alu instid0(VALU_DEP_4) | instskip(SKIP_1) | instid1(VALU_DEP_4)
	v_dual_fmac_f32 v101, v113, v10 :: v_dual_add_f32 v104, v94, v32
	v_sub_f32_e32 v94, v94, v32
	v_dual_sub_f32 v136, v116, v105 :: v_dual_fmac_f32 v43, v97, v22
	v_add_f32_e32 v45, v45, v47
	s_delay_alu instid0(VALU_DEP_3) | instskip(SKIP_2) | instid1(VALU_DEP_4)
	v_dual_fmac_f32 v39, v99, v4 :: v_dual_mul_f32 v120, 0xbf7ee86f, v94
	v_mul_f32_e32 v96, v109, v15
	v_dual_add_f32 v97, v49, v40 :: v_dual_mul_f32 v128, 0xbf4c4adb, v94
	v_add_f32_e32 v50, v45, v43
	v_mul_f32_e32 v46, v107, v13
	v_mul_f32_e32 v45, v106, v13
	v_dual_mul_f32 v49, v108, v15 :: v_dual_mul_f32 v132, 0xbf06c442, v94
	s_delay_alu instid0(VALU_DEP_4)
	v_add_f32_e32 v98, v50, v39
	v_fma_f32 v50, v108, v14, -v96
	v_add_f32_e32 v96, v97, v36
	v_fma_f32 v46, v106, v12, -v46
	v_fmac_f32_e32 v45, v107, v12
	v_dual_add_f32 v97, v98, v35 :: v_dual_mul_f32 v98, v111, v9
	s_delay_alu instid0(VALU_DEP_4) | instskip(SKIP_1) | instid1(VALU_DEP_3)
	v_dual_add_f32 v96, v96, v38 :: v_dual_mul_f32 v99, v110, v9
	v_fmac_f32_e32 v49, v109, v14
	v_add_f32_e32 v97, v97, v37
	s_delay_alu instid0(VALU_DEP_4) | instskip(NEXT) | instid1(VALU_DEP_4)
	v_fma_f32 v98, v110, v8, -v98
	v_dual_add_f32 v96, v96, v42 :: v_dual_fmac_f32 v99, v111, v8
	v_fmac_f32_e32 v103, v33, v2
	s_delay_alu instid0(VALU_DEP_4) | instskip(SKIP_1) | instid1(VALU_DEP_4)
	v_add_f32_e32 v97, v97, v41
	v_fma_f32 v100, v112, v10, -v100
	v_add_f32_e32 v96, v96, v46
	v_mul_f32_e32 v107, 0xbeb8f4ab, v94
	s_delay_alu instid0(VALU_DEP_4) | instskip(SKIP_1) | instid1(VALU_DEP_4)
	v_dual_mul_f32 v110, 0xbf2c7751, v94 :: v_dual_add_f32 v97, v97, v45
	v_mul_f32_e32 v113, 0xbf65296c, v94
	v_add_f32_e32 v96, v96, v50
	v_mul_f32_e32 v125, 0xbf763a35, v94
	s_delay_alu instid0(VALU_DEP_4) | instskip(NEXT) | instid1(VALU_DEP_1)
	v_dual_mul_f32 v94, 0xbe3c28d5, v94 :: v_dual_add_f32 v97, v97, v49
	v_dual_add_f32 v33, v96, v98 :: v_dual_add_f32 v96, v97, v99
	v_sub_f32_e32 v97, v88, v103
	s_delay_alu instid0(VALU_DEP_2) | instskip(NEXT) | instid1(VALU_DEP_3)
	v_dual_add_f32 v33, v33, v100 :: v_dual_add_f32 v88, v88, v103
	v_add_f32_e32 v96, v96, v101
	s_delay_alu instid0(VALU_DEP_3) | instskip(NEXT) | instid1(VALU_DEP_3)
	v_mul_f32_e32 v106, 0xbeb8f4ab, v97
	v_dual_mul_f32 v126, 0xbf4c4adb, v97 :: v_dual_add_f32 v33, v33, v102
	v_mul_f32_e32 v131, 0xbf06c442, v97
	s_delay_alu instid0(VALU_DEP_4) | instskip(NEXT) | instid1(VALU_DEP_4)
	v_add_f32_e32 v96, v96, v105
	v_fma_f32 v108, 0x3f6eb680, v104, -v106
	s_delay_alu instid0(VALU_DEP_4)
	v_fma_f32 v129, 0xbf1a4643, v104, -v126
	v_fmac_f32_e32 v126, 0xbf1a4643, v104
	v_fmamk_f32 v134, v88, 0xbf59a7d5, v132
	v_add_f32_e32 v32, v33, v32
	v_add_f32_e32 v108, v92, v108
	v_dual_add_f32 v33, v96, v103 :: v_dual_mul_f32 v96, 0xbf2c7751, v97
	v_mul_f32_e32 v111, 0xbf65296c, v97
	v_mul_f32_e32 v122, 0xbf763a35, v97
	v_fma_f32 v133, 0xbf59a7d5, v104, -v131
	v_dual_add_f32 v126, v92, v126 :: v_dual_mul_f32 v119, 0xbf7ee86f, v97
	v_dual_mul_f32 v97, 0xbe3c28d5, v97 :: v_dual_add_f32 v134, v93, v134
	v_fmamk_f32 v127, v88, 0xbe8c1d8e, v125
	v_fma_f32 v125, 0xbe8c1d8e, v88, -v125
	v_fmac_f32_e32 v106, 0x3f6eb680, v104
	v_fma_f32 v109, 0x3f3d2fb0, v104, -v96
	v_fmac_f32_e32 v96, 0x3f3d2fb0, v104
	v_fma_f32 v114, 0x3ee437d1, v104, -v111
	v_fma_f32 v121, 0x3dbcf732, v104, -v119
	;; [unrolled: 1-line block ×3, first 2 shown]
	v_dual_fmac_f32 v122, 0xbe8c1d8e, v104 :: v_dual_add_f32 v125, v93, v125
	v_fmac_f32_e32 v111, 0x3ee437d1, v104
	v_add_f32_e32 v133, v92, v133
	v_fmac_f32_e32 v119, 0x3dbcf732, v104
	v_fmac_f32_e32 v131, 0xbf59a7d5, v104
	v_fma_f32 v135, 0xbf7ba420, v104, -v97
	v_fmamk_f32 v137, v88, 0xbf7ba420, v94
	v_dual_fmac_f32 v97, 0xbf7ba420, v104 :: v_dual_sub_f32 v104, v117, v102
	v_dual_add_f32 v102, v117, v102 :: v_dual_mul_f32 v117, 0xbf2c7751, v136
	v_add_f32_e32 v106, v92, v106
	v_fmamk_f32 v103, v88, 0x3f6eb680, v107
	v_fma_f32 v107, 0x3f6eb680, v88, -v107
	v_fmamk_f32 v112, v88, 0x3f3d2fb0, v110
	v_fma_f32 v110, 0x3f3d2fb0, v88, -v110
	v_add_f32_e32 v119, v92, v119
	v_fmamk_f32 v115, v88, 0x3ee437d1, v113
	v_fma_f32 v113, 0x3ee437d1, v88, -v113
	v_fmamk_f32 v130, v88, 0xbf1a4643, v128
	v_fma_f32 v128, 0xbf1a4643, v88, -v128
	v_fma_f32 v132, 0xbf59a7d5, v88, -v132
	v_add_f32_e32 v135, v92, v135
	v_add_f32_e32 v129, v92, v129
	v_fmamk_f32 v123, v88, 0x3dbcf732, v120
	v_fma_f32 v120, 0x3dbcf732, v88, -v120
	v_fma_f32 v88, 0xbf7ba420, v88, -v94
	v_dual_add_f32 v94, v116, v105 :: v_dual_mul_f32 v105, 0xbf2c7751, v104
	v_add_f32_e32 v116, v93, v137
	v_fma_f32 v137, 0x3f3d2fb0, v102, -v117
	v_fmac_f32_e32 v117, 0x3f3d2fb0, v102
	v_add_f32_e32 v107, v93, v107
	v_add_f32_e32 v112, v93, v112
	;; [unrolled: 1-line block ×3, first 2 shown]
	v_dual_add_f32 v109, v92, v109 :: v_dual_add_f32 v110, v93, v110
	v_dual_add_f32 v114, v92, v114 :: v_dual_add_f32 v115, v93, v115
	v_add_f32_e32 v111, v92, v111
	v_add_f32_e32 v113, v93, v113
	;; [unrolled: 1-line block ×5, first 2 shown]
	v_dual_add_f32 v124, v92, v124 :: v_dual_add_f32 v127, v93, v127
	v_add_f32_e32 v122, v92, v122
	v_add_f32_e32 v130, v93, v130
	v_dual_add_f32 v128, v93, v128 :: v_dual_add_f32 v131, v92, v131
	v_add_f32_e32 v132, v93, v132
	v_add_f32_e32 v92, v92, v97
	;; [unrolled: 1-line block ×3, first 2 shown]
	v_dual_mul_f32 v97, 0xbf7ee86f, v136 :: v_dual_add_f32 v106, v117, v106
	v_dual_mul_f32 v138, 0xbf4c4adb, v104 :: v_dual_add_f32 v103, v93, v103
	v_fmamk_f32 v93, v94, 0x3f3d2fb0, v105
	v_fma_f32 v105, 0x3f3d2fb0, v94, -v105
	v_add_f32_e32 v108, v137, v108
	v_mul_f32_e32 v137, 0xbf7ee86f, v104
	s_delay_alu instid0(VALU_DEP_4)
	v_add_f32_e32 v93, v93, v103
	v_fma_f32 v103, 0x3dbcf732, v102, -v97
	v_add_f32_e32 v105, v105, v107
	v_mul_f32_e32 v107, 0xbf4c4adb, v136
	v_fmac_f32_e32 v97, 0x3dbcf732, v102
	v_fma_f32 v117, 0x3dbcf732, v94, -v137
	s_delay_alu instid0(VALU_DEP_2) | instskip(SKIP_2) | instid1(VALU_DEP_4)
	v_dual_add_f32 v96, v97, v96 :: v_dual_add_f32 v103, v103, v109
	v_fmamk_f32 v109, v94, 0x3dbcf732, v137
	v_fma_f32 v137, 0xbf1a4643, v102, -v107
	v_add_f32_e32 v97, v117, v110
	v_fmac_f32_e32 v107, 0xbf1a4643, v102
	v_fma_f32 v117, 0xbf1a4643, v94, -v138
	v_add_f32_e32 v109, v109, v112
	v_add_f32_e32 v110, v137, v114
	v_fmamk_f32 v112, v94, 0xbf1a4643, v138
	v_mul_f32_e32 v114, 0xbe3c28d5, v136
	v_mul_f32_e32 v137, 0xbe3c28d5, v104
	v_mul_f32_e32 v138, 0x3f763a35, v104
	s_delay_alu instid0(VALU_DEP_4) | instskip(NEXT) | instid1(VALU_DEP_4)
	v_add_f32_e32 v112, v112, v115
	v_fma_f32 v115, 0xbf7ba420, v102, -v114
	s_delay_alu instid0(VALU_DEP_1) | instskip(SKIP_1) | instid1(VALU_DEP_1)
	v_dual_fmac_f32 v114, 0xbf7ba420, v102 :: v_dual_add_f32 v115, v115, v121
	v_fma_f32 v121, 0xbf7ba420, v94, -v137
	v_dual_add_f32 v114, v114, v119 :: v_dual_add_f32 v119, v121, v120
	v_dual_mul_f32 v120, 0x3f763a35, v136 :: v_dual_add_f32 v107, v107, v111
	v_add_f32_e32 v111, v117, v113
	v_fmamk_f32 v113, v94, 0xbf7ba420, v137
	v_mul_f32_e32 v117, 0x3f06c442, v136
	v_mul_f32_e32 v137, 0x3f06c442, v104
	s_delay_alu instid0(VALU_DEP_3) | instskip(NEXT) | instid1(VALU_DEP_3)
	v_add_f32_e32 v113, v113, v123
	v_fma_f32 v123, 0xbf59a7d5, v102, -v117
	v_fmac_f32_e32 v117, 0xbf59a7d5, v102
	s_delay_alu instid0(VALU_DEP_2)
	v_add_f32_e32 v121, v123, v124
	v_fmamk_f32 v123, v94, 0xbf59a7d5, v137
	v_fma_f32 v124, 0xbf59a7d5, v94, -v137
	v_fma_f32 v137, 0xbe8c1d8e, v102, -v120
	v_add_f32_e32 v117, v117, v122
	v_fmac_f32_e32 v120, 0xbe8c1d8e, v102
	s_delay_alu instid0(VALU_DEP_4) | instskip(NEXT) | instid1(VALU_DEP_4)
	v_add_f32_e32 v122, v124, v125
	v_dual_add_f32 v124, v137, v129 :: v_dual_mul_f32 v129, 0x3f65296c, v104
	s_delay_alu instid0(VALU_DEP_3) | instskip(SKIP_2) | instid1(VALU_DEP_4)
	v_dual_add_f32 v120, v120, v126 :: v_dual_fmamk_f32 v125, v94, 0xbe8c1d8e, v138
	v_mul_f32_e32 v104, 0x3eb8f4ab, v104
	v_fma_f32 v137, 0xbe8c1d8e, v94, -v138
	v_fmamk_f32 v126, v94, 0x3ee437d1, v129
	v_fma_f32 v129, 0x3ee437d1, v94, -v129
	v_add_f32_e32 v125, v125, v130
	s_delay_alu instid0(VALU_DEP_4) | instskip(NEXT) | instid1(VALU_DEP_4)
	v_add_f32_e32 v128, v137, v128
	v_add_f32_e32 v126, v126, v134
	;; [unrolled: 1-line block ×3, first 2 shown]
	v_dual_sub_f32 v100, v118, v100 :: v_dual_add_f32 v123, v123, v127
	v_mul_f32_e32 v127, 0x3f65296c, v136
	v_mul_f32_e32 v136, 0x3eb8f4ab, v136
	v_add_f32_e32 v129, v129, v132
	s_delay_alu instid0(VALU_DEP_3) | instskip(NEXT) | instid1(VALU_DEP_1)
	v_fma_f32 v130, 0x3ee437d1, v102, -v127
	v_add_f32_e32 v130, v130, v133
	s_delay_alu instid0(VALU_DEP_4) | instskip(SKIP_1) | instid1(VALU_DEP_2)
	v_fma_f32 v133, 0x3f6eb680, v102, -v136
	v_fmac_f32_e32 v136, 0x3f6eb680, v102
	v_add_f32_e32 v132, v133, v135
	s_delay_alu instid0(VALU_DEP_2) | instskip(SKIP_3) | instid1(VALU_DEP_4)
	v_dual_add_f32 v92, v136, v92 :: v_dual_fmac_f32 v127, 0x3ee437d1, v102
	v_mul_f32_e32 v102, 0xbf65296c, v100
	v_fmamk_f32 v133, v94, 0x3f6eb680, v104
	v_fma_f32 v94, 0x3f6eb680, v94, -v104
	v_add_f32_e32 v127, v127, v131
	v_sub_f32_e32 v131, v95, v101
	s_delay_alu instid0(VALU_DEP_3) | instskip(SKIP_2) | instid1(VALU_DEP_4)
	v_dual_add_f32 v95, v95, v101 :: v_dual_add_f32 v88, v94, v88
	v_add_f32_e32 v104, v133, v116
	v_mul_f32_e32 v116, 0xbf4c4adb, v100
	v_mul_f32_e32 v135, 0xbf65296c, v131
	v_mul_f32_e32 v118, 0x3e3c28d5, v131
	v_mul_f32_e32 v133, 0x3f763a35, v100
	s_delay_alu instid0(VALU_DEP_3) | instskip(NEXT) | instid1(VALU_DEP_1)
	v_fma_f32 v101, 0x3ee437d1, v134, -v135
	v_dual_add_f32 v94, v101, v108 :: v_dual_fmamk_f32 v101, v95, 0x3ee437d1, v102
	v_mul_f32_e32 v108, 0xbf4c4adb, v131
	v_fma_f32 v102, 0x3ee437d1, v95, -v102
	s_delay_alu instid0(VALU_DEP_3) | instskip(NEXT) | instid1(VALU_DEP_3)
	v_add_f32_e32 v93, v101, v93
	v_fma_f32 v101, 0xbf1a4643, v134, -v108
	v_fmac_f32_e32 v108, 0xbf1a4643, v134
	s_delay_alu instid0(VALU_DEP_4) | instskip(NEXT) | instid1(VALU_DEP_3)
	v_dual_add_f32 v102, v102, v105 :: v_dual_fmamk_f32 v105, v95, 0xbf1a4643, v116
	v_add_f32_e32 v101, v101, v103
	v_fma_f32 v103, 0xbf1a4643, v95, -v116
	s_delay_alu instid0(VALU_DEP_3) | instskip(SKIP_1) | instid1(VALU_DEP_3)
	v_dual_mul_f32 v116, 0x3e3c28d5, v100 :: v_dual_add_f32 v105, v105, v109
	v_fma_f32 v109, 0xbf7ba420, v134, -v118
	v_dual_add_f32 v96, v108, v96 :: v_dual_add_f32 v97, v103, v97
	v_mul_f32_e32 v103, 0x3f763a35, v131
	v_fmac_f32_e32 v118, 0xbf7ba420, v134
	s_delay_alu instid0(VALU_DEP_4) | instskip(SKIP_1) | instid1(VALU_DEP_4)
	v_dual_add_f32 v108, v109, v110 :: v_dual_fmamk_f32 v109, v95, 0xbf7ba420, v116
	v_fma_f32 v110, 0xbf7ba420, v95, -v116
	v_fma_f32 v116, 0xbe8c1d8e, v134, -v103
	s_delay_alu instid0(VALU_DEP_4)
	v_add_f32_e32 v107, v118, v107
	v_fmac_f32_e32 v103, 0xbe8c1d8e, v134
	v_dual_add_f32 v109, v109, v112 :: v_dual_fmamk_f32 v112, v95, 0xbe8c1d8e, v133
	v_add_f32_e32 v110, v110, v111
	v_add_f32_e32 v111, v116, v115
	v_fma_f32 v116, 0xbe8c1d8e, v95, -v133
	v_dual_mul_f32 v118, 0x3f2c7751, v100 :: v_dual_mul_f32 v115, 0x3f2c7751, v131
	v_add_f32_e32 v103, v103, v114
	s_delay_alu instid0(VALU_DEP_3) | instskip(NEXT) | instid1(VALU_DEP_3)
	v_dual_mul_f32 v133, 0xbf7ee86f, v100 :: v_dual_add_f32 v114, v116, v119
	v_fmamk_f32 v116, v95, 0x3f3d2fb0, v118
	v_add_f32_e32 v112, v112, v113
	v_fma_f32 v113, 0x3f3d2fb0, v134, -v115
	v_mul_f32_e32 v119, 0xbeb8f4ab, v131
	v_fmac_f32_e32 v115, 0x3f3d2fb0, v134
	v_fma_f32 v118, 0x3f3d2fb0, v95, -v118
	v_dual_add_f32 v116, v116, v123 :: v_dual_mul_f32 v123, 0xbeb8f4ab, v100
	v_add_f32_e32 v113, v113, v121
	v_fma_f32 v121, 0x3f6eb680, v134, -v119
	v_add_f32_e32 v115, v115, v117
	v_dual_add_f32 v117, v118, v122 :: v_dual_mul_f32 v118, 0xbf7ee86f, v131
	v_fmamk_f32 v122, v95, 0x3f6eb680, v123
	v_fmac_f32_e32 v119, 0x3f6eb680, v134
	v_fma_f32 v123, 0x3f6eb680, v95, -v123
	v_add_f32_e32 v121, v121, v124
	v_fma_f32 v124, 0x3dbcf732, v134, -v118
	s_delay_alu instid0(VALU_DEP_4) | instskip(NEXT) | instid1(VALU_DEP_4)
	v_dual_fmac_f32 v118, 0x3dbcf732, v134 :: v_dual_add_f32 v119, v119, v120
	v_add_f32_e32 v120, v123, v128
	v_fma_f32 v128, 0x3dbcf732, v95, -v133
	v_mul_f32_e32 v100, 0xbf06c442, v100
	s_delay_alu instid0(VALU_DEP_4) | instskip(NEXT) | instid1(VALU_DEP_3)
	v_dual_add_f32 v118, v118, v127 :: v_dual_add_f32 v123, v124, v130
	v_dual_fmamk_f32 v124, v95, 0x3dbcf732, v133 :: v_dual_add_f32 v127, v128, v129
	v_sub_f32_e32 v128, v51, v99
	s_delay_alu instid0(VALU_DEP_4)
	v_fmamk_f32 v130, v95, 0xbf59a7d5, v100
	v_add_f32_e32 v129, v87, v98
	v_sub_f32_e32 v87, v87, v98
	v_fma_f32 v95, 0xbf59a7d5, v95, -v100
	v_mul_f32_e32 v98, 0xbf7ee86f, v128
	v_add_f32_e32 v104, v130, v104
	v_dual_add_f32 v122, v122, v125 :: v_dual_mul_f32 v125, 0xbf06c442, v131
	s_delay_alu instid0(VALU_DEP_4) | instskip(NEXT) | instid1(VALU_DEP_4)
	v_add_f32_e32 v88, v95, v88
	v_fma_f32 v100, 0x3dbcf732, v129, -v98
	v_mul_f32_e32 v95, 0xbe3c28d5, v128
	v_fmac_f32_e32 v98, 0x3dbcf732, v129
	v_add_f32_e32 v124, v124, v126
	v_fma_f32 v126, 0xbf59a7d5, v134, -v125
	v_add_f32_e32 v94, v100, v94
	v_fma_f32 v100, 0xbf7ba420, v129, -v95
	v_fmac_f32_e32 v125, 0xbf59a7d5, v134
	v_add_f32_e32 v51, v51, v99
	v_dual_fmac_f32 v95, 0xbf7ba420, v129 :: v_dual_add_f32 v126, v126, v132
	s_delay_alu instid0(VALU_DEP_4) | instskip(NEXT) | instid1(VALU_DEP_4)
	v_dual_add_f32 v100, v100, v101 :: v_dual_mul_f32 v101, 0x3f763a35, v128
	v_add_f32_e32 v92, v125, v92
	s_delay_alu instid0(VALU_DEP_3) | instskip(NEXT) | instid1(VALU_DEP_3)
	v_add_f32_e32 v95, v95, v96
	v_fma_f32 v130, 0xbe8c1d8e, v129, -v101
	v_fmac_f32_e32 v101, 0xbe8c1d8e, v129
	s_delay_alu instid0(VALU_DEP_1) | instskip(SKIP_1) | instid1(VALU_DEP_1)
	v_add_f32_e32 v101, v101, v107
	v_mul_f32_e32 v99, 0xbf7ee86f, v87
	v_fmamk_f32 v125, v51, 0x3dbcf732, v99
	v_fma_f32 v99, 0x3dbcf732, v51, -v99
	s_delay_alu instid0(VALU_DEP_2) | instskip(SKIP_1) | instid1(VALU_DEP_3)
	v_add_f32_e32 v93, v125, v93
	v_mul_f32_e32 v125, 0xbe3c28d5, v87
	v_add_f32_e32 v99, v99, v102
	s_delay_alu instid0(VALU_DEP_2) | instskip(NEXT) | instid1(VALU_DEP_1)
	v_fmamk_f32 v102, v51, 0xbf7ba420, v125
	v_dual_add_f32 v102, v102, v105 :: v_dual_fmac_f32 v135, 0x3ee437d1, v134
	s_delay_alu instid0(VALU_DEP_1) | instskip(NEXT) | instid1(VALU_DEP_1)
	v_dual_add_f32 v105, v130, v108 :: v_dual_add_f32 v106, v135, v106
	v_add_f32_e32 v98, v98, v106
	v_fma_f32 v106, 0xbf7ba420, v51, -v125
	s_delay_alu instid0(VALU_DEP_1) | instskip(NEXT) | instid1(VALU_DEP_1)
	v_dual_mul_f32 v125, 0x3f763a35, v87 :: v_dual_add_f32 v96, v106, v97
	v_fmamk_f32 v97, v51, 0xbe8c1d8e, v125
	v_mul_f32_e32 v106, 0x3eb8f4ab, v128
	v_fma_f32 v108, 0xbe8c1d8e, v51, -v125
	s_delay_alu instid0(VALU_DEP_2) | instskip(NEXT) | instid1(VALU_DEP_2)
	v_fma_f32 v125, 0x3f6eb680, v129, -v106
	v_dual_add_f32 v107, v108, v110 :: v_dual_mul_f32 v108, 0xbf65296c, v128
	v_fmac_f32_e32 v106, 0x3f6eb680, v129
	v_add_f32_e32 v97, v97, v109
	v_mul_f32_e32 v109, 0x3eb8f4ab, v87
	v_add_f32_e32 v111, v125, v111
	v_fma_f32 v125, 0x3ee437d1, v129, -v108
	v_dual_add_f32 v103, v106, v103 :: v_dual_fmac_f32 v108, 0x3ee437d1, v129
	s_delay_alu instid0(VALU_DEP_4) | instskip(SKIP_1) | instid1(VALU_DEP_3)
	v_fmamk_f32 v110, v51, 0x3f6eb680, v109
	v_fma_f32 v109, 0x3f6eb680, v51, -v109
	v_add_f32_e32 v108, v108, v115
	s_delay_alu instid0(VALU_DEP_3) | instskip(SKIP_1) | instid1(VALU_DEP_4)
	v_add_f32_e32 v110, v110, v112
	v_mul_f32_e32 v112, 0xbf65296c, v87
	v_add_f32_e32 v106, v109, v114
	v_add_f32_e32 v109, v125, v113
	v_mul_f32_e32 v113, 0xbf06c442, v128
	v_mul_f32_e32 v125, 0xbf06c442, v87
	v_fmamk_f32 v114, v51, 0x3ee437d1, v112
	v_fma_f32 v112, 0x3ee437d1, v51, -v112
	s_delay_alu instid0(VALU_DEP_4) | instskip(NEXT) | instid1(VALU_DEP_3)
	v_fma_f32 v130, 0xbf59a7d5, v129, -v113
	v_dual_fmamk_f32 v115, v51, 0xbf59a7d5, v125 :: v_dual_add_f32 v114, v114, v116
	s_delay_alu instid0(VALU_DEP_3) | instskip(NEXT) | instid1(VALU_DEP_3)
	v_dual_add_f32 v112, v112, v117 :: v_dual_mul_f32 v117, 0x3f4c4adb, v128
	v_add_f32_e32 v116, v130, v121
	v_fmac_f32_e32 v113, 0xbf59a7d5, v129
	v_fma_f32 v121, 0xbf59a7d5, v51, -v125
	v_dual_add_f32 v115, v115, v122 :: v_dual_mul_f32 v122, 0x3f4c4adb, v87
	v_fma_f32 v125, 0xbf1a4643, v129, -v117
	s_delay_alu instid0(VALU_DEP_4) | instskip(NEXT) | instid1(VALU_DEP_4)
	v_add_f32_e32 v113, v113, v119
	v_add_f32_e32 v119, v121, v120
	v_mul_f32_e32 v120, 0x3f2c7751, v128
	v_fmamk_f32 v121, v51, 0xbf1a4643, v122
	v_add_f32_e32 v123, v125, v123
	v_fmac_f32_e32 v117, 0xbf1a4643, v129
	v_fma_f32 v122, 0xbf1a4643, v51, -v122
	v_fma_f32 v125, 0x3f3d2fb0, v129, -v120
	v_add_f32_e32 v121, v121, v124
	v_dual_mul_f32 v87, 0x3f2c7751, v87 :: v_dual_sub_f32 v124, v47, v49
	s_delay_alu instid0(VALU_DEP_4) | instskip(NEXT) | instid1(VALU_DEP_2)
	v_dual_add_f32 v117, v117, v118 :: v_dual_add_f32 v118, v122, v127
	v_dual_add_f32 v122, v125, v126 :: v_dual_fmamk_f32 v125, v51, 0x3f3d2fb0, v87
	v_sub_f32_e32 v126, v48, v50
	v_add_f32_e32 v48, v48, v50
	v_mul_f32_e32 v50, 0xbf763a35, v124
	v_fma_f32 v51, 0x3f3d2fb0, v51, -v87
	v_add_f32_e32 v47, v47, v49
	v_mul_f32_e32 v49, 0xbf763a35, v126
	v_add_f32_e32 v87, v125, v104
	v_fma_f32 v104, 0xbe8c1d8e, v48, -v50
	v_fmac_f32_e32 v50, 0xbe8c1d8e, v48
	v_add_f32_e32 v51, v51, v88
	v_fmamk_f32 v88, v47, 0xbe8c1d8e, v49
	v_fma_f32 v49, 0xbe8c1d8e, v47, -v49
	v_add_f32_e32 v94, v104, v94
	v_mul_f32_e32 v104, 0x3f06c442, v126
	v_add_f32_e32 v50, v50, v98
	v_mul_f32_e32 v98, 0x3f2c7751, v124
	v_dual_fmac_f32 v120, 0x3f3d2fb0, v129 :: v_dual_add_f32 v49, v49, v99
	s_delay_alu instid0(VALU_DEP_4) | instskip(NEXT) | instid1(VALU_DEP_2)
	v_fmamk_f32 v99, v47, 0xbf59a7d5, v104
	v_dual_mul_f32 v125, 0x3f2c7751, v126 :: v_dual_add_f32 v92, v120, v92
	s_delay_alu instid0(VALU_DEP_2) | instskip(NEXT) | instid1(VALU_DEP_2)
	v_dual_mul_f32 v120, 0x3f06c442, v124 :: v_dual_add_f32 v99, v99, v102
	v_fmamk_f32 v102, v47, 0x3f3d2fb0, v125
	v_add_f32_e32 v88, v88, v93
	s_delay_alu instid0(VALU_DEP_3) | instskip(SKIP_1) | instid1(VALU_DEP_2)
	v_fma_f32 v93, 0xbf59a7d5, v48, -v120
	v_fmac_f32_e32 v120, 0xbf59a7d5, v48
	v_add_f32_e32 v93, v93, v100
	v_fma_f32 v100, 0xbf59a7d5, v47, -v104
	v_fma_f32 v104, 0x3f3d2fb0, v48, -v98
	s_delay_alu instid0(VALU_DEP_4) | instskip(SKIP_1) | instid1(VALU_DEP_4)
	v_dual_add_f32 v95, v120, v95 :: v_dual_fmac_f32 v98, 0x3f3d2fb0, v48
	v_mul_f32_e32 v120, 0xbf65296c, v126
	v_add_f32_e32 v96, v100, v96
	s_delay_alu instid0(VALU_DEP_4) | instskip(SKIP_3) | instid1(VALU_DEP_3)
	v_add_f32_e32 v100, v104, v105
	v_dual_mul_f32 v104, 0xbf65296c, v124 :: v_dual_add_f32 v97, v102, v97
	v_fma_f32 v105, 0x3f3d2fb0, v47, -v125
	v_mul_f32_e32 v125, 0x3f7ee86f, v126
	v_fma_f32 v102, 0x3ee437d1, v48, -v104
	v_fmac_f32_e32 v104, 0x3ee437d1, v48
	v_add_f32_e32 v98, v98, v101
	s_delay_alu instid0(VALU_DEP_3) | instskip(SKIP_1) | instid1(VALU_DEP_1)
	v_add_f32_e32 v102, v102, v111
	v_fma_f32 v111, 0x3ee437d1, v47, -v120
	v_dual_add_f32 v103, v104, v103 :: v_dual_add_f32 v104, v111, v106
	v_dual_mul_f32 v106, 0x3f7ee86f, v124 :: v_dual_add_f32 v101, v105, v107
	v_fmamk_f32 v105, v47, 0x3ee437d1, v120
	v_dual_mul_f32 v107, 0xbe3c28d5, v124 :: v_dual_mul_f32 v120, 0xbe3c28d5, v126
	s_delay_alu instid0(VALU_DEP_2) | instskip(NEXT) | instid1(VALU_DEP_2)
	v_add_f32_e32 v105, v105, v110
	v_fma_f32 v110, 0xbf7ba420, v48, -v107
	v_fmac_f32_e32 v107, 0xbf7ba420, v48
	s_delay_alu instid0(VALU_DEP_4) | instskip(NEXT) | instid1(VALU_DEP_3)
	v_fma_f32 v111, 0xbf7ba420, v47, -v120
	v_dual_add_f32 v109, v110, v109 :: v_dual_fmamk_f32 v110, v47, 0xbf7ba420, v120
	v_fma_f32 v120, 0x3dbcf732, v48, -v106
	s_delay_alu instid0(VALU_DEP_4) | instskip(NEXT) | instid1(VALU_DEP_4)
	v_add_f32_e32 v107, v107, v108
	v_add_f32_e32 v108, v111, v112
	v_fmamk_f32 v112, v47, 0x3dbcf732, v125
	s_delay_alu instid0(VALU_DEP_4) | instskip(SKIP_3) | instid1(VALU_DEP_2)
	v_dual_add_f32 v110, v110, v114 :: v_dual_add_f32 v111, v120, v116
	v_mul_f32_e32 v114, 0xbeb8f4ab, v124
	v_fma_f32 v120, 0x3dbcf732, v47, -v125
	v_fmac_f32_e32 v106, 0x3dbcf732, v48
	v_dual_mul_f32 v116, 0xbeb8f4ab, v126 :: v_dual_add_f32 v119, v120, v119
	v_mul_f32_e32 v120, 0xbf4c4adb, v124
	v_add_f32_e32 v112, v112, v115
	v_fma_f32 v115, 0x3f6eb680, v48, -v114
	v_fmac_f32_e32 v114, 0x3f6eb680, v48
	v_add_f32_e32 v106, v106, v113
	s_delay_alu instid0(VALU_DEP_2) | instskip(SKIP_3) | instid1(VALU_DEP_4)
	v_dual_add_f32 v114, v114, v117 :: v_dual_fmamk_f32 v113, v47, 0x3f6eb680, v116
	v_fma_f32 v116, 0x3f6eb680, v47, -v116
	v_sub_f32_e32 v117, v43, v45
	v_add_f32_e32 v43, v43, v45
	v_add_f32_e32 v113, v113, v121
	v_fma_f32 v121, 0xbf1a4643, v48, -v120
	v_add_f32_e32 v116, v116, v118
	v_mul_f32_e32 v124, 0xbf4c4adb, v117
	v_dual_fmac_f32 v120, 0xbf1a4643, v48 :: v_dual_add_f32 v115, v115, v123
	s_delay_alu instid0(VALU_DEP_4) | instskip(SKIP_3) | instid1(VALU_DEP_3)
	v_add_f32_e32 v118, v121, v122
	v_add_f32_e32 v122, v44, v46
	v_mul_f32_e32 v123, 0xbf4c4adb, v126
	v_sub_f32_e32 v44, v44, v46
	v_fma_f32 v45, 0xbf1a4643, v122, -v124
	s_delay_alu instid0(VALU_DEP_3) | instskip(SKIP_1) | instid1(VALU_DEP_3)
	v_fma_f32 v46, 0xbf1a4643, v47, -v123
	v_fmac_f32_e32 v124, 0xbf1a4643, v122
	v_add_f32_e32 v45, v45, v94
	v_fmamk_f32 v121, v47, 0xbf1a4643, v123
	s_delay_alu instid0(VALU_DEP_4) | instskip(NEXT) | instid1(VALU_DEP_4)
	v_dual_mul_f32 v47, 0xbf4c4adb, v44 :: v_dual_add_f32 v46, v46, v51
	v_add_f32_e32 v50, v124, v50
	v_mul_f32_e32 v94, 0x3f763a35, v44
	s_delay_alu instid0(VALU_DEP_4) | instskip(NEXT) | instid1(VALU_DEP_4)
	v_dual_add_f32 v48, v121, v87 :: v_dual_add_f32 v87, v120, v92
	v_fmamk_f32 v51, v43, 0xbf1a4643, v47
	v_mul_f32_e32 v92, 0x3f763a35, v117
	v_fma_f32 v47, 0xbf1a4643, v43, -v47
	s_delay_alu instid0(VALU_DEP_3) | instskip(NEXT) | instid1(VALU_DEP_3)
	v_dual_mul_f32 v120, 0xbeb8f4ab, v117 :: v_dual_add_f32 v51, v51, v88
	v_fma_f32 v88, 0xbe8c1d8e, v122, -v92
	s_delay_alu instid0(VALU_DEP_3) | instskip(NEXT) | instid1(VALU_DEP_2)
	v_dual_fmac_f32 v92, 0xbe8c1d8e, v122 :: v_dual_add_f32 v47, v47, v49
	v_add_f32_e32 v88, v88, v93
	v_fma_f32 v93, 0xbe8c1d8e, v43, -v94
	s_delay_alu instid0(VALU_DEP_3) | instskip(SKIP_1) | instid1(VALU_DEP_3)
	v_dual_add_f32 v92, v92, v95 :: v_dual_fmamk_f32 v49, v43, 0xbe8c1d8e, v94
	v_fma_f32 v94, 0x3f6eb680, v122, -v120
	v_dual_fmac_f32 v120, 0x3f6eb680, v122 :: v_dual_add_f32 v93, v93, v96
	s_delay_alu instid0(VALU_DEP_3) | instskip(SKIP_1) | instid1(VALU_DEP_4)
	v_add_f32_e32 v49, v49, v99
	v_mul_f32_e32 v99, 0xbeb8f4ab, v44
	v_dual_add_f32 v94, v94, v100 :: v_dual_mul_f32 v95, 0xbf06c442, v117
	s_delay_alu instid0(VALU_DEP_2) | instskip(SKIP_1) | instid1(VALU_DEP_3)
	v_fmamk_f32 v96, v43, 0x3f6eb680, v99
	v_fma_f32 v99, 0x3f6eb680, v43, -v99
	v_fma_f32 v100, 0xbf59a7d5, v122, -v95
	s_delay_alu instid0(VALU_DEP_3) | instskip(NEXT) | instid1(VALU_DEP_3)
	v_add_f32_e32 v96, v96, v97
	v_dual_add_f32 v97, v120, v98 :: v_dual_add_f32 v98, v99, v101
	v_mul_f32_e32 v121, 0xbf06c442, v44
	s_delay_alu instid0(VALU_DEP_4) | instskip(SKIP_1) | instid1(VALU_DEP_3)
	v_add_f32_e32 v99, v100, v102
	v_dual_mul_f32 v101, 0x3f7ee86f, v117 :: v_dual_mul_f32 v120, 0x3f7ee86f, v44
	v_fmamk_f32 v100, v43, 0xbf59a7d5, v121
	v_fma_f32 v102, 0xbf59a7d5, v43, -v121
	v_mul_f32_e32 v121, 0xbe3c28d5, v44
	s_delay_alu instid0(VALU_DEP_2) | instskip(SKIP_3) | instid1(VALU_DEP_2)
	v_add_f32_e32 v102, v102, v104
	v_mul_f32_e32 v104, 0xbf2c7751, v117
	v_dual_add_f32 v100, v100, v105 :: v_dual_fmac_f32 v95, 0xbf59a7d5, v122
	v_fma_f32 v105, 0x3dbcf732, v122, -v101
	v_add_f32_e32 v95, v95, v103
	v_fmamk_f32 v103, v43, 0x3dbcf732, v120
	s_delay_alu instid0(VALU_DEP_1)
	v_add_f32_e32 v103, v103, v110
	v_fma_f32 v110, 0x3f3d2fb0, v122, -v104
	v_dual_fmac_f32 v104, 0x3f3d2fb0, v122 :: v_dual_add_f32 v105, v105, v109
	v_fmac_f32_e32 v101, 0x3dbcf732, v122
	v_fma_f32 v109, 0x3dbcf732, v43, -v120
	v_mul_f32_e32 v120, 0xbf2c7751, v44
	s_delay_alu instid0(VALU_DEP_4) | instskip(NEXT) | instid1(VALU_DEP_4)
	v_add_f32_e32 v104, v104, v106
	v_dual_mul_f32 v44, 0x3f65296c, v44 :: v_dual_add_f32 v101, v101, v107
	s_delay_alu instid0(VALU_DEP_4) | instskip(NEXT) | instid1(VALU_DEP_4)
	v_dual_add_f32 v107, v109, v108 :: v_dual_mul_f32 v108, 0xbe3c28d5, v117
	v_dual_add_f32 v109, v110, v111 :: v_dual_fmamk_f32 v110, v43, 0x3f3d2fb0, v120
	v_fma_f32 v111, 0x3f3d2fb0, v43, -v120
	s_delay_alu instid0(VALU_DEP_3) | instskip(SKIP_1) | instid1(VALU_DEP_4)
	v_fma_f32 v120, 0xbf7ba420, v122, -v108
	v_fmac_f32_e32 v108, 0xbf7ba420, v122
	v_add_f32_e32 v110, v110, v112
	v_fmamk_f32 v112, v43, 0xbf7ba420, v121
	v_add_f32_e32 v106, v111, v119
	s_delay_alu instid0(VALU_DEP_4) | instskip(NEXT) | instid1(VALU_DEP_3)
	v_add_f32_e32 v108, v108, v114
	v_add_f32_e32 v112, v112, v113
	;; [unrolled: 1-line block ×3, first 2 shown]
	v_mul_f32_e32 v115, 0x3f65296c, v117
	v_fma_f32 v117, 0xbf7ba420, v43, -v121
	s_delay_alu instid0(VALU_DEP_2) | instskip(NEXT) | instid1(VALU_DEP_2)
	v_fma_f32 v113, 0x3ee437d1, v122, -v115
	v_add_f32_e32 v114, v117, v116
	v_dual_sub_f32 v116, v39, v41 :: v_dual_add_f32 v117, v40, v42
	v_sub_f32_e32 v40, v40, v42
	v_fmac_f32_e32 v115, 0x3ee437d1, v122
	s_delay_alu instid0(VALU_DEP_3)
	v_dual_add_f32 v39, v39, v41 :: v_dual_mul_f32 v42, 0xbf06c442, v116
	v_fmamk_f32 v119, v43, 0x3ee437d1, v44
	v_fma_f32 v43, 0x3ee437d1, v43, -v44
	v_mul_f32_e32 v41, 0xbf06c442, v40
	v_add_f32_e32 v113, v113, v118
	v_fma_f32 v44, 0xbf59a7d5, v117, -v42
	v_dual_fmac_f32 v42, 0xbf59a7d5, v117 :: v_dual_add_f32 v87, v115, v87
	v_dual_add_f32 v43, v43, v46 :: v_dual_mul_f32 v46, 0x3f65296c, v116
	v_fmamk_f32 v115, v39, 0xbf59a7d5, v41
	v_fma_f32 v41, 0xbf59a7d5, v39, -v41
	v_add_f32_e32 v48, v119, v48
	v_add_f32_e32 v44, v44, v45
	v_fma_f32 v45, 0x3ee437d1, v117, -v46
	v_dual_fmac_f32 v46, 0x3ee437d1, v117 :: v_dual_add_f32 v51, v115, v51
	v_add_f32_e32 v41, v41, v47
	v_dual_mul_f32 v115, 0x3f65296c, v40 :: v_dual_add_f32 v42, v42, v50
	s_delay_alu instid0(VALU_DEP_4) | instskip(NEXT) | instid1(VALU_DEP_4)
	v_add_f32_e32 v45, v45, v88
	v_add_f32_e32 v46, v46, v92
	s_delay_alu instid0(VALU_DEP_3) | instskip(SKIP_1) | instid1(VALU_DEP_2)
	v_fmamk_f32 v50, v39, 0x3ee437d1, v115
	v_fma_f32 v88, 0x3ee437d1, v39, -v115
	v_add_f32_e32 v49, v50, v49
	s_delay_alu instid0(VALU_DEP_2) | instskip(SKIP_1) | instid1(VALU_DEP_2)
	v_dual_mul_f32 v47, 0xbf7ee86f, v116 :: v_dual_add_f32 v50, v88, v93
	v_mul_f32_e32 v115, 0xbf7ee86f, v40
	v_fma_f32 v118, 0x3dbcf732, v117, -v47
	s_delay_alu instid0(VALU_DEP_2) | instskip(NEXT) | instid1(VALU_DEP_2)
	v_fmamk_f32 v88, v39, 0x3dbcf732, v115
	v_add_f32_e32 v92, v118, v94
	v_fma_f32 v94, 0x3dbcf732, v39, -v115
	s_delay_alu instid0(VALU_DEP_3) | instskip(SKIP_1) | instid1(VALU_DEP_3)
	v_add_f32_e32 v88, v88, v96
	v_mul_f32_e32 v96, 0x3f4c4adb, v40
	v_dual_fmac_f32 v47, 0x3dbcf732, v117 :: v_dual_add_f32 v94, v94, v98
	v_mul_f32_e32 v93, 0x3f4c4adb, v116
	s_delay_alu instid0(VALU_DEP_3) | instskip(NEXT) | instid1(VALU_DEP_3)
	v_fmamk_f32 v98, v39, 0xbf1a4643, v96
	v_add_f32_e32 v47, v47, v97
	v_fma_f32 v96, 0xbf1a4643, v39, -v96
	s_delay_alu instid0(VALU_DEP_4) | instskip(NEXT) | instid1(VALU_DEP_4)
	v_fma_f32 v115, 0xbf1a4643, v117, -v93
	v_dual_fmac_f32 v93, 0xbf1a4643, v117 :: v_dual_add_f32 v98, v98, v100
	v_mul_f32_e32 v97, 0xbeb8f4ab, v116
	s_delay_alu instid0(VALU_DEP_3) | instskip(NEXT) | instid1(VALU_DEP_3)
	v_dual_mul_f32 v100, 0xbeb8f4ab, v40 :: v_dual_add_f32 v99, v115, v99
	v_add_f32_e32 v93, v93, v95
	v_add_f32_e32 v95, v96, v102
	s_delay_alu instid0(VALU_DEP_4) | instskip(SKIP_2) | instid1(VALU_DEP_3)
	v_fma_f32 v115, 0x3f6eb680, v117, -v97
	v_mul_f32_e32 v102, 0xbe3c28d5, v116
	v_fmac_f32_e32 v97, 0x3f6eb680, v117
	v_add_f32_e32 v96, v115, v105
	s_delay_alu instid0(VALU_DEP_3) | instskip(NEXT) | instid1(VALU_DEP_3)
	v_fma_f32 v118, 0xbf7ba420, v117, -v102
	v_add_f32_e32 v97, v97, v101
	v_fmamk_f32 v105, v39, 0x3f6eb680, v100
	v_fma_f32 v100, 0x3f6eb680, v39, -v100
	s_delay_alu instid0(VALU_DEP_2) | instskip(SKIP_1) | instid1(VALU_DEP_3)
	v_dual_fmac_f32 v102, 0xbf7ba420, v117 :: v_dual_add_f32 v103, v105, v103
	v_add_f32_e32 v105, v118, v109
	v_dual_mul_f32 v115, 0xbe3c28d5, v40 :: v_dual_add_f32 v100, v100, v107
	v_mul_f32_e32 v107, 0x3f2c7751, v116
	s_delay_alu instid0(VALU_DEP_2) | instskip(SKIP_1) | instid1(VALU_DEP_3)
	v_dual_add_f32 v102, v102, v104 :: v_dual_fmamk_f32 v101, v39, 0xbf7ba420, v115
	v_fma_f32 v109, 0xbf7ba420, v39, -v115
	v_fma_f32 v115, 0x3f3d2fb0, v117, -v107
	v_fmac_f32_e32 v107, 0x3f3d2fb0, v117
	s_delay_alu instid0(VALU_DEP_4) | instskip(NEXT) | instid1(VALU_DEP_4)
	v_dual_add_f32 v101, v101, v110 :: v_dual_mul_f32 v110, 0x3f2c7751, v40
	v_add_f32_e32 v104, v109, v106
	v_mul_f32_e32 v106, 0xbf763a35, v116
	s_delay_alu instid0(VALU_DEP_4) | instskip(SKIP_3) | instid1(VALU_DEP_2)
	v_add_f32_e32 v107, v107, v108
	v_mul_f32_e32 v40, 0xbf763a35, v40
	v_fmamk_f32 v109, v39, 0x3f3d2fb0, v110
	v_fma_f32 v110, 0x3f3d2fb0, v39, -v110
	v_dual_add_f32 v116, v35, v37 :: v_dual_add_f32 v109, v109, v112
	v_sub_f32_e32 v112, v35, v37
	v_add_f32_e32 v111, v115, v111
	v_fma_f32 v115, 0xbe8c1d8e, v117, -v106
	v_add_f32_e32 v108, v110, v114
	v_sub_f32_e32 v114, v36, v38
	s_delay_alu instid0(VALU_DEP_3) | instskip(SKIP_3) | instid1(VALU_DEP_3)
	v_add_f32_e32 v110, v115, v113
	v_dual_fmac_f32 v106, 0xbe8c1d8e, v117 :: v_dual_add_f32 v115, v36, v38
	v_mul_f32_e32 v38, 0xbe3c28d5, v112
	v_fma_f32 v36, 0xbe8c1d8e, v39, -v40
	v_dual_mul_f32 v37, 0xbe3c28d5, v114 :: v_dual_add_f32 v106, v106, v87
	v_fmamk_f32 v113, v39, 0xbe8c1d8e, v40
	s_delay_alu instid0(VALU_DEP_4) | instskip(NEXT) | instid1(VALU_DEP_4)
	v_fma_f32 v35, 0xbf7ba420, v115, -v38
	v_add_f32_e32 v117, v36, v43
	v_mul_f32_e32 v43, 0x3eb8f4ab, v112
	v_fmac_f32_e32 v38, 0xbf7ba420, v115
	v_fma_f32 v39, 0xbf7ba420, v116, -v37
	v_dual_add_f32 v35, v35, v44 :: v_dual_mul_f32 v44, 0x3eb8f4ab, v114
	s_delay_alu instid0(VALU_DEP_4) | instskip(SKIP_3) | instid1(VALU_DEP_4)
	v_fma_f32 v40, 0x3f6eb680, v115, -v43
	v_dual_add_f32 v113, v113, v48 :: v_dual_fmamk_f32 v36, v116, 0xbf7ba420, v37
	v_dual_add_f32 v37, v38, v42 :: v_dual_mul_f32 v48, 0xbf06c442, v112
	v_add_f32_e32 v38, v39, v41
	v_add_f32_e32 v39, v40, v45
	v_dual_fmamk_f32 v40, v116, 0x3f6eb680, v44 :: v_dual_fmac_f32 v43, 0x3f6eb680, v115
	v_fma_f32 v42, 0x3f6eb680, v116, -v44
	v_fma_f32 v44, 0xbf59a7d5, v115, -v48
	s_delay_alu instid0(VALU_DEP_3) | instskip(SKIP_2) | instid1(VALU_DEP_4)
	v_dual_mul_f32 v45, 0xbf06c442, v114 :: v_dual_add_f32 v40, v40, v49
	v_dual_mul_f32 v49, 0x3f2c7751, v112 :: v_dual_add_f32 v36, v36, v51
	v_add_f32_e32 v41, v43, v46
	v_dual_add_f32 v42, v42, v50 :: v_dual_add_f32 v43, v44, v92
	s_delay_alu instid0(VALU_DEP_4)
	v_fmamk_f32 v44, v116, 0xbf59a7d5, v45
	v_fmac_f32_e32 v48, 0xbf59a7d5, v115
	v_mul_f32_e32 v50, 0x3f2c7751, v114
	v_fma_f32 v51, 0x3f3d2fb0, v115, -v49
	v_mul_f32_e32 v92, 0xbf4c4adb, v112
	v_fma_f32 v46, 0xbf59a7d5, v116, -v45
	v_add_f32_e32 v44, v44, v88
	v_add_f32_e32 v45, v48, v47
	v_dual_fmamk_f32 v48, v116, 0x3f3d2fb0, v50 :: v_dual_add_f32 v47, v51, v99
	v_fmac_f32_e32 v49, 0x3f3d2fb0, v115
	v_fma_f32 v50, 0x3f3d2fb0, v116, -v50
	v_fma_f32 v51, 0xbf1a4643, v115, -v92
	v_mul_f32_e32 v88, 0xbf4c4adb, v114
	s_delay_alu instid0(VALU_DEP_4) | instskip(NEXT) | instid1(VALU_DEP_3)
	v_dual_add_f32 v48, v48, v98 :: v_dual_add_f32 v49, v49, v93
	v_dual_add_f32 v50, v50, v95 :: v_dual_add_f32 v87, v51, v96
	s_delay_alu instid0(VALU_DEP_3) | instskip(SKIP_3) | instid1(VALU_DEP_3)
	v_fmamk_f32 v51, v116, 0xbf1a4643, v88
	v_fma_f32 v93, 0xbf1a4643, v116, -v88
	v_dual_mul_f32 v95, 0x3f65296c, v114 :: v_dual_mul_f32 v98, 0x3f65296c, v112
	v_fmac_f32_e32 v92, 0xbf1a4643, v115
	v_dual_add_f32 v88, v51, v103 :: v_dual_add_f32 v93, v93, v100
	s_delay_alu instid0(VALU_DEP_3)
	v_fmamk_f32 v51, v116, 0x3ee437d1, v95
	v_mul_f32_e32 v100, 0xbf763a35, v112
	v_add_f32_e32 v46, v46, v94
	v_fma_f32 v94, 0x3ee437d1, v115, -v98
	v_add_f32_e32 v92, v92, v97
	v_fmac_f32_e32 v98, 0x3ee437d1, v115
	v_fma_f32 v97, 0x3ee437d1, v116, -v95
	v_add_f32_e32 v95, v51, v101
	v_fma_f32 v51, 0xbe8c1d8e, v115, -v100
	v_mul_f32_e32 v103, 0xbf763a35, v114
	v_add_f32_e32 v96, v98, v102
	v_dual_mul_f32 v101, 0x3f7ee86f, v114 :: v_dual_add_f32 v94, v94, v105
	s_delay_alu instid0(VALU_DEP_4) | instskip(NEXT) | instid1(VALU_DEP_4)
	v_dual_add_f32 v98, v51, v111 :: v_dual_mul_f32 v51, 0x3f7ee86f, v112
	v_fmamk_f32 v99, v116, 0xbe8c1d8e, v103
	v_dual_add_f32 v97, v97, v104 :: v_dual_fmac_f32 v100, 0xbe8c1d8e, v115
	v_fma_f32 v102, 0xbe8c1d8e, v116, -v103
	s_delay_alu instid0(VALU_DEP_4)
	v_fma_f32 v103, 0x3dbcf732, v115, -v51
	v_fmamk_f32 v104, v116, 0x3dbcf732, v101
	v_fmac_f32_e32 v51, 0x3dbcf732, v115
	v_fma_f32 v105, 0x3dbcf732, v116, -v101
	v_dual_add_f32 v99, v99, v109 :: v_dual_add_f32 v100, v100, v107
	v_dual_add_f32 v101, v102, v108 :: v_dual_add_f32 v102, v103, v110
	s_delay_alu instid0(VALU_DEP_4) | instskip(NEXT) | instid1(VALU_DEP_4)
	v_dual_add_f32 v103, v104, v113 :: v_dual_add_f32 v104, v51, v106
	v_add_f32_e32 v105, v105, v117
	ds_store_2addr_b64 v90, v[32:33], v[35:36] offset1:17
	ds_store_2addr_b64 v90, v[39:40], v[43:44] offset0:34 offset1:51
	ds_store_2addr_b64 v90, v[47:48], v[87:88] offset0:68 offset1:85
	;; [unrolled: 1-line block ×7, first 2 shown]
	ds_store_b64 v90, v[37:38] offset:2176
	global_wb scope:SCOPE_SE
	s_wait_dscnt 0x0
	s_barrier_signal -1
	s_barrier_wait -1
	global_inv scope:SCOPE_SE
	s_clause 0x10
	global_load_b64 v[44:45], v34, s[8:9] offset:2312
	global_load_b64 v[46:47], v34, s[2:3] offset:136
	;; [unrolled: 1-line block ×17, first 2 shown]
	ds_load_2addr_b64 v[32:35], v90 offset1:17
	ds_load_2addr_b64 v[36:39], v90 offset0:34 offset1:51
	ds_load_2addr_b64 v[40:43], v90 offset0:68 offset1:85
	s_mov_b32 s2, 0xd10d4986
	s_mov_b32 s3, 0x3f6c5894
	s_wait_loadcnt_dscnt 0x1002
	v_mul_f32_e32 v116, v33, v45
	s_wait_loadcnt 0xf
	v_dual_mul_f32 v117, v32, v45 :: v_dual_mul_f32 v118, v35, v47
	v_mul_f32_e32 v45, v34, v47
	s_wait_loadcnt_dscnt 0xe01
	v_mul_f32_e32 v47, v37, v49
	v_fma_f32 v116, v32, v44, -v116
	v_fmac_f32_e32 v117, v33, v44
	v_fma_f32 v44, v34, v46, -v118
	v_fmac_f32_e32 v45, v35, v46
	ds_load_2addr_b64 v[32:35], v90 offset0:102 offset1:119
	v_mul_f32_e32 v46, v36, v49
	s_wait_loadcnt 0xd
	v_mul_f32_e32 v118, v39, v51
	v_mul_f32_e32 v49, v38, v51
	ds_store_2addr_b64 v90, v[116:117], v[44:45] offset1:17
	v_fma_f32 v45, v36, v48, -v47
	v_fmac_f32_e32 v46, v37, v48
	v_fma_f32 v48, v38, v50, -v118
	s_wait_loadcnt_dscnt 0xc02
	v_dual_fmac_f32 v49, v39, v50 :: v_dual_mul_f32 v44, v41, v88
	ds_load_2addr_b64 v[36:39], v90 offset0:136 offset1:153
	v_mul_f32_e32 v47, v40, v88
	s_wait_loadcnt 0xb
	v_mul_f32_e32 v51, v43, v93
	v_mul_f32_e32 v50, v42, v93
	ds_store_2addr_b64 v90, v[45:46], v[48:49] offset0:34 offset1:51
	v_fma_f32 v46, v40, v87, -v44
	v_fmac_f32_e32 v47, v41, v87
	v_fma_f32 v49, v42, v92, -v51
	v_fmac_f32_e32 v50, v43, v92
	ds_load_2addr_b64 v[40:43], v90 offset0:170 offset1:187
	s_wait_loadcnt_dscnt 0xa04
	v_mul_f32_e32 v44, v33, v95
	v_mul_f32_e32 v51, v32, v95
	s_wait_loadcnt 0x9
	v_mul_f32_e32 v45, v35, v97
	v_mul_f32_e32 v88, v34, v97
	ds_store_2addr_b64 v90, v[46:47], v[49:50] offset0:68 offset1:85
	v_fma_f32 v50, v32, v94, -v44
	v_fmac_f32_e32 v51, v33, v94
	v_fma_f32 v87, v34, v96, -v45
	v_fmac_f32_e32 v88, v35, v96
	ds_load_2addr_b64 v[32:35], v90 offset0:204 offset1:221
	ds_load_2addr_b64 v[44:47], v90 offset0:238 offset1:255
	s_wait_loadcnt_dscnt 0x805
	v_mul_f32_e32 v48, v37, v99
	v_mul_f32_e32 v49, v36, v99
	ds_store_2addr_b64 v90, v[50:51], v[87:88] offset0:102 offset1:119
	ds_load_b64 v[87:88], v90 offset:2176
	s_wait_loadcnt 0x7
	v_mul_f32_e32 v92, v39, v101
	v_fma_f32 v48, v36, v98, -v48
	v_fmac_f32_e32 v49, v37, v98
	v_mul_f32_e32 v37, v38, v101
	s_wait_loadcnt_dscnt 0x605
	v_mul_f32_e32 v51, v40, v103
	v_fma_f32 v36, v38, v100, -v92
	v_mul_f32_e32 v38, v41, v103
	s_wait_loadcnt 0x5
	v_mul_f32_e32 v92, v43, v105
	v_fmac_f32_e32 v37, v39, v100
	v_fmac_f32_e32 v51, v41, v102
	v_mul_f32_e32 v93, v42, v105
	v_fma_f32 v50, v40, v102, -v38
	v_fma_f32 v92, v42, v104, -v92
	s_wait_loadcnt_dscnt 0x303
	v_dual_mul_f32 v39, v32, v107 :: v_dual_mul_f32 v40, v35, v109
	v_dual_mul_f32 v41, v34, v109 :: v_dual_mul_f32 v38, v33, v107
	s_wait_loadcnt_dscnt 0x202
	v_mul_f32_e32 v42, v45, v111
	s_delay_alu instid0(VALU_DEP_3)
	v_fmac_f32_e32 v39, v33, v106
	v_fma_f32 v40, v34, v108, -v40
	v_fmac_f32_e32 v41, v35, v108
	s_wait_loadcnt 0x1
	v_dual_mul_f32 v33, v44, v111 :: v_dual_mul_f32 v34, v47, v113
	v_mul_f32_e32 v35, v46, v113
	v_fmac_f32_e32 v93, v43, v104
	v_fma_f32 v38, v32, v106, -v38
	v_fma_f32 v32, v44, v110, -v42
	s_wait_loadcnt_dscnt 0x0
	v_mul_f32_e32 v42, v88, v115
	v_mul_f32_e32 v43, v87, v115
	v_fmac_f32_e32 v33, v45, v110
	v_fma_f32 v34, v46, v112, -v34
	v_fmac_f32_e32 v35, v47, v112
	v_fma_f32 v42, v87, v114, -v42
	v_fmac_f32_e32 v43, v88, v114
	ds_store_2addr_b64 v90, v[48:49], v[36:37] offset0:136 offset1:153
	ds_store_2addr_b64 v90, v[50:51], v[92:93] offset0:170 offset1:187
	;; [unrolled: 1-line block ×4, first 2 shown]
	ds_store_b64 v90, v[42:43] offset:2176
	global_wb scope:SCOPE_SE
	s_wait_dscnt 0x0
	s_barrier_signal -1
	s_barrier_wait -1
	global_inv scope:SCOPE_SE
	ds_load_2addr_b64 v[92:95], v90 offset1:17
	ds_load_2addr_b64 v[96:99], v90 offset0:34 offset1:51
	ds_load_2addr_b64 v[44:47], v90 offset0:68 offset1:85
	;; [unrolled: 1-line block ×3, first 2 shown]
	s_wait_dscnt 0x3
	v_dual_add_f32 v32, v92, v94 :: v_dual_add_f32 v33, v93, v95
	s_wait_dscnt 0x2
	s_delay_alu instid0(VALU_DEP_1) | instskip(NEXT) | instid1(VALU_DEP_1)
	v_dual_add_f32 v32, v32, v96 :: v_dual_add_f32 v33, v33, v97
	v_dual_add_f32 v40, v32, v98 :: v_dual_add_f32 v41, v33, v99
	ds_load_2addr_b64 v[32:35], v90 offset0:136 offset1:153
	s_wait_dscnt 0x2
	v_dual_add_f32 v40, v40, v44 :: v_dual_add_f32 v41, v41, v45
	s_delay_alu instid0(VALU_DEP_1) | instskip(SKIP_3) | instid1(VALU_DEP_1)
	v_dual_add_f32 v48, v40, v46 :: v_dual_add_f32 v49, v41, v47
	ds_load_2addr_b64 v[40:43], v90 offset0:170 offset1:187
	s_wait_dscnt 0x2
	v_dual_add_f32 v48, v48, v36 :: v_dual_add_f32 v49, v49, v37
	v_dual_add_f32 v87, v48, v38 :: v_dual_add_f32 v88, v49, v39
	ds_load_2addr_b64 v[48:51], v90 offset0:204 offset1:221
	s_wait_dscnt 0x2
	v_dual_add_f32 v87, v87, v32 :: v_dual_add_f32 v88, v88, v33
	s_delay_alu instid0(VALU_DEP_1)
	v_dual_add_f32 v104, v87, v34 :: v_dual_add_f32 v105, v88, v35
	ds_load_2addr_b64 v[100:103], v90 offset0:238 offset1:255
	ds_load_b64 v[87:88], v90 offset:2176
	global_wb scope:SCOPE_SE
	s_wait_dscnt 0x0
	s_barrier_signal -1
	v_add_f32_e32 v104, v104, v40
	s_barrier_wait -1
	global_inv scope:SCOPE_SE
	v_add_f32_e32 v104, v104, v42
	s_delay_alu instid0(VALU_DEP_1) | instskip(NEXT) | instid1(VALU_DEP_1)
	v_add_f32_e32 v104, v104, v48
	v_dual_add_f32 v104, v104, v50 :: v_dual_sub_f32 v135, v97, v103
	v_sub_f32_e32 v106, v95, v88
	v_add_f32_e32 v107, v87, v94
	v_add_f32_e32 v95, v88, v95
	v_dual_sub_f32 v94, v94, v87 :: v_dual_add_f32 v97, v103, v97
	s_delay_alu instid0(VALU_DEP_4) | instskip(SKIP_1) | instid1(VALU_DEP_4)
	v_mul_f32_e32 v130, 0xbf06c442, v106
	v_mul_f32_e32 v118, 0xbf7ee86f, v106
	v_dual_mul_f32 v131, 0xbf59a7d5, v95 :: v_dual_add_f32 v104, v104, v100
	v_mul_f32_e32 v108, 0xbeb8f4ab, v106
	s_delay_alu instid0(VALU_DEP_4)
	v_fmamk_f32 v132, v107, 0xbf59a7d5, v130
	v_fma_f32 v130, 0xbf59a7d5, v107, -v130
	v_fmamk_f32 v120, v107, 0x3dbcf732, v118
	v_fma_f32 v118, 0x3dbcf732, v107, -v118
	v_fmamk_f32 v133, v94, 0x3f06c442, v131
	v_fmac_f32_e32 v131, 0xbf06c442, v94
	v_dual_add_f32 v130, v92, v130 :: v_dual_mul_f32 v127, 0xbf1a4643, v95
	s_delay_alu instid0(VALU_DEP_4) | instskip(NEXT) | instid1(VALU_DEP_3)
	v_dual_add_f32 v118, v92, v118 :: v_dual_mul_f32 v119, 0x3dbcf732, v95
	v_dual_add_f32 v131, v93, v131 :: v_dual_add_f32 v104, v104, v102
	s_delay_alu instid0(VALU_DEP_3) | instskip(SKIP_1) | instid1(VALU_DEP_4)
	v_fmamk_f32 v129, v94, 0x3f4c4adb, v127
	v_mul_f32_e32 v121, 0xbf763a35, v106
	v_fmamk_f32 v122, v94, 0x3f7ee86f, v119
	v_mul_f32_e32 v124, 0xbe8c1d8e, v95
	v_add_f32_e32 v87, v104, v87
	v_add_f32_e32 v129, v93, v129
	v_fmac_f32_e32 v119, 0xbf7ee86f, v94
	v_mul_f32_e32 v104, 0xbf2c7751, v106
	v_mul_f32_e32 v125, 0xbf4c4adb, v106
	v_fmamk_f32 v126, v94, 0x3f763a35, v124
	s_delay_alu instid0(VALU_DEP_4)
	v_dual_fmamk_f32 v110, v107, 0x3f6eb680, v108 :: v_dual_add_f32 v119, v93, v119
	v_mul_f32_e32 v113, 0xbf65296c, v106
	v_mul_f32_e32 v106, 0xbe3c28d5, v106
	v_fmamk_f32 v128, v107, 0xbf1a4643, v125
	v_add_f32_e32 v126, v93, v126
	v_fma_f32 v125, 0xbf1a4643, v107, -v125
	v_fmamk_f32 v116, v107, 0x3ee437d1, v113
	v_fma_f32 v113, 0x3ee437d1, v107, -v113
	v_dual_fmamk_f32 v134, v107, 0xbf7ba420, v106 :: v_dual_add_f32 v105, v105, v41
	v_fma_f32 v108, 0x3f6eb680, v107, -v108
	v_add_f32_e32 v125, v92, v125
	s_delay_alu instid0(VALU_DEP_4) | instskip(NEXT) | instid1(VALU_DEP_4)
	v_add_f32_e32 v113, v92, v113
	v_dual_mul_f32 v115, 0x3ee437d1, v95 :: v_dual_add_f32 v134, v92, v134
	v_add_f32_e32 v105, v105, v43
	v_fmamk_f32 v123, v107, 0xbe8c1d8e, v121
	v_fma_f32 v121, 0xbe8c1d8e, v107, -v121
	s_delay_alu instid0(VALU_DEP_4) | instskip(SKIP_3) | instid1(VALU_DEP_4)
	v_fmamk_f32 v117, v94, 0x3f65296c, v115
	v_fma_f32 v106, 0xbf7ba420, v107, -v106
	v_add_f32_e32 v110, v92, v110
	v_mul_f32_e32 v112, 0x3f3d2fb0, v95
	v_dual_add_f32 v108, v92, v108 :: v_dual_add_f32 v117, v93, v117
	v_fmamk_f32 v111, v107, 0x3f3d2fb0, v104
	v_fma_f32 v104, 0x3f3d2fb0, v107, -v104
	v_mul_f32_e32 v107, 0xbf2c7751, v135
	v_dual_add_f32 v105, v105, v49 :: v_dual_add_f32 v116, v92, v116
	v_add_f32_e32 v120, v92, v120
	s_delay_alu instid0(VALU_DEP_4) | instskip(NEXT) | instid1(VALU_DEP_3)
	v_dual_add_f32 v104, v92, v104 :: v_dual_mul_f32 v109, 0x3f6eb680, v95
	v_add_f32_e32 v105, v105, v51
	v_add_f32_e32 v123, v92, v123
	;; [unrolled: 1-line block ×4, first 2 shown]
	v_dual_add_f32 v132, v92, v132 :: v_dual_mul_f32 v95, 0xbf7ba420, v95
	v_mul_f32_e32 v137, 0xbf1a4643, v97
	v_add_f32_e32 v111, v92, v111
	v_dual_add_f32 v92, v92, v106 :: v_dual_add_f32 v105, v105, v101
	v_mul_f32_e32 v106, 0xbf7ee86f, v135
	v_fmamk_f32 v114, v94, 0x3f2c7751, v112
	v_fmac_f32_e32 v112, 0xbf2c7751, v94
	s_delay_alu instid0(VALU_DEP_4) | instskip(SKIP_2) | instid1(VALU_DEP_4)
	v_dual_fmac_f32 v124, 0xbf763a35, v94 :: v_dual_add_f32 v105, v105, v103
	v_fmamk_f32 v136, v94, 0x3e3c28d5, v95
	v_add_f32_e32 v103, v102, v96
	v_add_f32_e32 v112, v93, v112
	s_delay_alu instid0(VALU_DEP_4)
	v_add_f32_e32 v124, v93, v124
	v_dual_add_f32 v88, v105, v88 :: v_dual_fmamk_f32 v105, v94, 0x3eb8f4ab, v109
	v_fmac_f32_e32 v109, 0xbeb8f4ab, v94
	v_fmac_f32_e32 v115, 0xbf65296c, v94
	v_fmac_f32_e32 v127, 0xbf4c4adb, v94
	v_fmac_f32_e32 v95, 0xbe3c28d5, v94
	v_sub_f32_e32 v94, v96, v102
	v_mul_f32_e32 v96, 0x3f3d2fb0, v97
	v_add_f32_e32 v102, v93, v136
	v_dual_fmamk_f32 v136, v103, 0x3f3d2fb0, v107 :: v_dual_add_f32 v105, v93, v105
	v_add_f32_e32 v114, v93, v114
	v_add_f32_e32 v115, v93, v115
	v_add_f32_e32 v122, v93, v122
	v_add_f32_e32 v127, v93, v127
	v_dual_add_f32 v133, v93, v133 :: v_dual_add_f32 v110, v136, v110
	v_fma_f32 v107, 0x3f3d2fb0, v103, -v107
	v_mul_f32_e32 v136, 0x3dbcf732, v97
	v_add_f32_e32 v109, v93, v109
	v_add_f32_e32 v93, v93, v95
	v_fmamk_f32 v95, v94, 0x3f2c7751, v96
	v_dual_fmac_f32 v96, 0xbf2c7751, v94 :: v_dual_add_f32 v107, v107, v108
	s_delay_alu instid0(VALU_DEP_2) | instskip(NEXT) | instid1(VALU_DEP_2)
	v_dual_mul_f32 v108, 0xbf4c4adb, v135 :: v_dual_add_f32 v95, v95, v105
	v_dual_fmamk_f32 v105, v103, 0x3dbcf732, v106 :: v_dual_add_f32 v96, v96, v109
	v_fmamk_f32 v109, v94, 0x3f7ee86f, v136
	v_fma_f32 v106, 0x3dbcf732, v103, -v106
	v_fmac_f32_e32 v136, 0xbf7ee86f, v94
	s_delay_alu instid0(VALU_DEP_2) | instskip(NEXT) | instid1(VALU_DEP_2)
	v_dual_add_f32 v109, v109, v114 :: v_dual_add_f32 v104, v106, v104
	v_add_f32_e32 v106, v136, v112
	v_dual_fmamk_f32 v112, v94, 0x3f4c4adb, v137 :: v_dual_add_f32 v105, v105, v111
	v_fmamk_f32 v111, v103, 0xbf1a4643, v108
	v_mul_f32_e32 v114, 0xbe3c28d5, v135
	v_fma_f32 v108, 0xbf1a4643, v103, -v108
	s_delay_alu instid0(VALU_DEP_4) | instskip(NEXT) | instid1(VALU_DEP_4)
	v_dual_add_f32 v112, v112, v117 :: v_dual_fmac_f32 v137, 0xbf4c4adb, v94
	v_dual_add_f32 v111, v111, v116 :: v_dual_mul_f32 v116, 0xbf7ba420, v97
	s_delay_alu instid0(VALU_DEP_4)
	v_fmamk_f32 v117, v103, 0xbf7ba420, v114
	v_mul_f32_e32 v136, 0x3f06c442, v135
	v_fma_f32 v114, 0xbf7ba420, v103, -v114
	v_dual_add_f32 v108, v108, v113 :: v_dual_add_f32 v113, v137, v115
	v_fmamk_f32 v115, v94, 0x3e3c28d5, v116
	v_dual_add_f32 v117, v117, v120 :: v_dual_fmac_f32 v116, 0xbe3c28d5, v94
	v_fmamk_f32 v120, v103, 0xbf59a7d5, v136
	v_add_f32_e32 v114, v114, v118
	s_delay_alu instid0(VALU_DEP_4)
	v_dual_mul_f32 v118, 0x3f763a35, v135 :: v_dual_add_f32 v115, v115, v122
	v_mul_f32_e32 v122, 0xbf59a7d5, v97
	v_add_f32_e32 v116, v116, v119
	v_add_f32_e32 v119, v120, v123
	v_fma_f32 v123, 0xbf59a7d5, v103, -v136
	v_fmamk_f32 v136, v103, 0xbe8c1d8e, v118
	v_fmamk_f32 v120, v94, 0xbf06c442, v122
	v_fmac_f32_e32 v122, 0x3f06c442, v94
	v_mul_f32_e32 v137, 0xbe8c1d8e, v97
	v_add_f32_e32 v121, v123, v121
	v_add_f32_e32 v123, v136, v128
	v_fma_f32 v118, 0xbe8c1d8e, v103, -v118
	v_mul_f32_e32 v128, 0x3ee437d1, v97
	v_add_f32_e32 v120, v120, v126
	v_add_f32_e32 v122, v122, v124
	v_fmamk_f32 v124, v94, 0xbf763a35, v137
	v_add_f32_e32 v118, v118, v125
	v_fmamk_f32 v125, v94, 0xbf65296c, v128
	v_fmac_f32_e32 v128, 0x3f65296c, v94
	v_mul_f32_e32 v126, 0x3f65296c, v135
	v_add_f32_e32 v124, v124, v129
	s_delay_alu instid0(VALU_DEP_2) | instskip(SKIP_1) | instid1(VALU_DEP_1)
	v_dual_add_f32 v128, v128, v131 :: v_dual_fmamk_f32 v129, v103, 0x3ee437d1, v126
	v_fma_f32 v126, 0x3ee437d1, v103, -v126
	v_add_f32_e32 v126, v126, v130
	v_dual_sub_f32 v130, v99, v101 :: v_dual_add_f32 v99, v101, v99
	s_delay_alu instid0(VALU_DEP_4) | instskip(SKIP_1) | instid1(VALU_DEP_1)
	v_add_f32_e32 v129, v129, v132
	v_mul_f32_e32 v135, 0x3eb8f4ab, v135
	v_fmamk_f32 v132, v103, 0x3f6eb680, v135
	s_delay_alu instid0(VALU_DEP_1) | instskip(SKIP_2) | instid1(VALU_DEP_1)
	v_add_f32_e32 v131, v132, v134
	v_mul_f32_e32 v134, 0xbf65296c, v130
	v_mul_f32_e32 v97, 0x3f6eb680, v97
	v_fmamk_f32 v132, v94, 0xbeb8f4ab, v97
	v_fmac_f32_e32 v97, 0x3eb8f4ab, v94
	s_delay_alu instid0(VALU_DEP_2)
	v_add_f32_e32 v102, v132, v102
	v_mul_f32_e32 v132, 0xbe8c1d8e, v99
	v_dual_fmac_f32 v137, 0x3f763a35, v94 :: v_dual_sub_f32 v94, v98, v100
	v_add_f32_e32 v125, v125, v133
	v_dual_add_f32 v133, v100, v98 :: v_dual_mul_f32 v100, 0x3ee437d1, v99
	v_add_f32_e32 v93, v97, v93
	s_delay_alu instid0(VALU_DEP_2) | instskip(SKIP_2) | instid1(VALU_DEP_2)
	v_fmamk_f32 v98, v133, 0x3ee437d1, v134
	v_fma_f32 v101, 0x3f6eb680, v103, -v135
	v_fma_f32 v103, 0x3ee437d1, v133, -v134
	v_dual_add_f32 v97, v98, v110 :: v_dual_add_f32 v92, v101, v92
	v_fmamk_f32 v98, v94, 0x3f65296c, v100
	v_mul_f32_e32 v101, 0xbf4c4adb, v130
	v_fmac_f32_e32 v100, 0xbf65296c, v94
	v_mul_f32_e32 v110, 0xbf1a4643, v99
	v_add_f32_e32 v103, v103, v107
	s_delay_alu instid0(VALU_DEP_4) | instskip(NEXT) | instid1(VALU_DEP_4)
	v_dual_add_f32 v95, v98, v95 :: v_dual_fmamk_f32 v98, v133, 0xbf1a4643, v101
	v_add_f32_e32 v96, v100, v96
	s_delay_alu instid0(VALU_DEP_4) | instskip(SKIP_4) | instid1(VALU_DEP_4)
	v_fmamk_f32 v100, v94, 0x3f4c4adb, v110
	v_mul_f32_e32 v107, 0x3e3c28d5, v130
	v_fma_f32 v101, 0xbf1a4643, v133, -v101
	v_fmac_f32_e32 v110, 0xbf4c4adb, v94
	v_add_f32_e32 v98, v98, v105
	v_dual_add_f32 v100, v100, v109 :: v_dual_fmamk_f32 v105, v133, 0xbf7ba420, v107
	v_mul_f32_e32 v109, 0xbf7ba420, v99
	s_delay_alu instid0(VALU_DEP_4) | instskip(NEXT) | instid1(VALU_DEP_3)
	v_dual_add_f32 v101, v101, v104 :: v_dual_add_f32 v104, v110, v106
	v_dual_mul_f32 v106, 0x3f763a35, v130 :: v_dual_add_f32 v105, v105, v111
	s_delay_alu instid0(VALU_DEP_3) | instskip(SKIP_2) | instid1(VALU_DEP_4)
	v_fmamk_f32 v110, v94, 0xbe3c28d5, v109
	v_fma_f32 v107, 0xbf7ba420, v133, -v107
	v_fmac_f32_e32 v109, 0x3e3c28d5, v94
	v_fmamk_f32 v111, v133, 0xbe8c1d8e, v106
	v_fma_f32 v106, 0xbe8c1d8e, v133, -v106
	v_add_f32_e32 v110, v110, v112
	s_delay_alu instid0(VALU_DEP_4) | instskip(NEXT) | instid1(VALU_DEP_4)
	v_dual_add_f32 v107, v107, v108 :: v_dual_add_f32 v108, v109, v113
	v_add_f32_e32 v109, v111, v117
	v_fmamk_f32 v111, v94, 0xbf763a35, v132
	v_fmac_f32_e32 v132, 0x3f763a35, v94
	v_mul_f32_e32 v112, 0x3f2c7751, v130
	v_add_f32_e32 v106, v106, v114
	v_mul_f32_e32 v117, 0xbeb8f4ab, v130
	s_delay_alu instid0(VALU_DEP_4) | instskip(SKIP_3) | instid1(VALU_DEP_2)
	v_dual_add_f32 v111, v111, v115 :: v_dual_add_f32 v114, v132, v116
	v_mul_f32_e32 v113, 0x3f3d2fb0, v99
	v_fmamk_f32 v115, v133, 0x3f3d2fb0, v112
	v_fma_f32 v112, 0x3f3d2fb0, v133, -v112
	v_dual_fmamk_f32 v116, v94, 0xbf2c7751, v113 :: v_dual_add_f32 v115, v115, v119
	s_delay_alu instid0(VALU_DEP_2) | instskip(NEXT) | instid1(VALU_DEP_2)
	v_dual_fmac_f32 v113, 0x3f2c7751, v94 :: v_dual_add_f32 v112, v112, v121
	v_add_f32_e32 v116, v116, v120
	v_mul_f32_e32 v120, 0x3f6eb680, v99
	v_add_f32_e32 v127, v137, v127
	s_delay_alu instid0(VALU_DEP_2) | instskip(SKIP_1) | instid1(VALU_DEP_2)
	v_dual_add_f32 v113, v113, v122 :: v_dual_fmamk_f32 v122, v94, 0x3eb8f4ab, v120
	v_fmac_f32_e32 v120, 0xbeb8f4ab, v94
	v_dual_add_f32 v122, v122, v124 :: v_dual_fmamk_f32 v119, v133, 0x3f6eb680, v117
	v_fma_f32 v117, 0x3f6eb680, v133, -v117
	v_mul_f32_e32 v124, 0xbf06c442, v130
	v_mul_f32_e32 v132, 0x3dbcf732, v99
	;; [unrolled: 1-line block ×3, first 2 shown]
	s_delay_alu instid0(VALU_DEP_4) | instskip(SKIP_1) | instid1(VALU_DEP_3)
	v_add_f32_e32 v117, v117, v118
	v_dual_mul_f32 v121, 0xbf7ee86f, v130 :: v_dual_add_f32 v118, v120, v127
	v_fmamk_f32 v127, v94, 0x3f06c442, v99
	v_fmac_f32_e32 v99, 0xbf06c442, v94
	s_delay_alu instid0(VALU_DEP_2) | instskip(SKIP_3) | instid1(VALU_DEP_1)
	v_dual_add_f32 v102, v127, v102 :: v_dual_add_f32 v127, v50, v44
	v_dual_sub_f32 v44, v44, v50 :: v_dual_add_f32 v119, v119, v123
	v_fmamk_f32 v123, v133, 0x3dbcf732, v121
	v_fma_f32 v121, 0x3dbcf732, v133, -v121
	v_dual_add_f32 v120, v123, v129 :: v_dual_add_f32 v121, v121, v126
	v_fmamk_f32 v123, v94, 0x3f7ee86f, v132
	v_dual_fmac_f32 v132, 0xbf7ee86f, v94 :: v_dual_add_f32 v93, v99, v93
	s_delay_alu instid0(VALU_DEP_1) | instskip(SKIP_1) | instid1(VALU_DEP_4)
	v_add_f32_e32 v126, v132, v128
	v_dual_sub_f32 v128, v45, v51 :: v_dual_add_f32 v45, v51, v45
	v_add_f32_e32 v123, v123, v125
	v_fmamk_f32 v125, v133, 0xbf59a7d5, v124
	v_fma_f32 v124, 0xbf59a7d5, v133, -v124
	s_delay_alu instid0(VALU_DEP_4) | instskip(SKIP_1) | instid1(VALU_DEP_3)
	v_mul_f32_e32 v51, 0xbf7ee86f, v128
	v_mul_f32_e32 v50, 0x3dbcf732, v45
	v_add_f32_e32 v92, v124, v92
	s_delay_alu instid0(VALU_DEP_3) | instskip(NEXT) | instid1(VALU_DEP_3)
	v_fmamk_f32 v94, v127, 0x3dbcf732, v51
	v_fmamk_f32 v124, v44, 0x3f7ee86f, v50
	v_fmac_f32_e32 v50, 0xbf7ee86f, v44
	v_fma_f32 v51, 0x3dbcf732, v127, -v51
	s_delay_alu instid0(VALU_DEP_4) | instskip(NEXT) | instid1(VALU_DEP_4)
	v_dual_add_f32 v94, v94, v97 :: v_dual_mul_f32 v99, 0xbe3c28d5, v128
	v_dual_add_f32 v95, v124, v95 :: v_dual_mul_f32 v124, 0xbf7ba420, v45
	s_delay_alu instid0(VALU_DEP_3) | instskip(NEXT) | instid1(VALU_DEP_3)
	v_dual_add_f32 v50, v50, v96 :: v_dual_add_f32 v51, v51, v103
	v_fmamk_f32 v97, v127, 0xbf7ba420, v99
	v_fma_f32 v99, 0xbf7ba420, v127, -v99
	s_delay_alu instid0(VALU_DEP_2) | instskip(SKIP_2) | instid1(VALU_DEP_4)
	v_dual_mul_f32 v103, 0xbe8c1d8e, v45 :: v_dual_add_f32 v96, v97, v98
	v_mul_f32_e32 v97, 0x3f763a35, v128
	v_fmamk_f32 v98, v44, 0x3e3c28d5, v124
	v_dual_fmac_f32 v124, 0xbe3c28d5, v44 :: v_dual_add_f32 v99, v99, v101
	s_delay_alu instid0(VALU_DEP_2) | instskip(NEXT) | instid1(VALU_DEP_2)
	v_dual_fmamk_f32 v101, v44, 0xbf763a35, v103 :: v_dual_add_f32 v98, v98, v100
	v_dual_fmamk_f32 v129, v127, 0xbe8c1d8e, v97 :: v_dual_add_f32 v100, v124, v104
	v_fma_f32 v97, 0xbe8c1d8e, v127, -v97
	s_delay_alu instid0(VALU_DEP_3) | instskip(NEXT) | instid1(VALU_DEP_3)
	v_dual_add_f32 v101, v101, v110 :: v_dual_mul_f32 v110, 0x3f6eb680, v45
	v_dual_add_f32 v104, v129, v105 :: v_dual_mul_f32 v105, 0x3eb8f4ab, v128
	s_delay_alu instid0(VALU_DEP_3) | instskip(SKIP_2) | instid1(VALU_DEP_4)
	v_add_f32_e32 v97, v97, v107
	v_fmac_f32_e32 v103, 0x3f763a35, v44
	v_mul_f32_e32 v107, 0xbf65296c, v128
	v_fmamk_f32 v124, v127, 0x3f6eb680, v105
	v_fma_f32 v105, 0x3f6eb680, v127, -v105
	s_delay_alu instid0(VALU_DEP_4) | instskip(NEXT) | instid1(VALU_DEP_3)
	v_dual_add_f32 v103, v103, v108 :: v_dual_fmamk_f32 v108, v44, 0xbeb8f4ab, v110
	v_dual_fmac_f32 v110, 0x3eb8f4ab, v44 :: v_dual_add_f32 v109, v124, v109
	s_delay_alu instid0(VALU_DEP_3) | instskip(SKIP_1) | instid1(VALU_DEP_3)
	v_dual_fmamk_f32 v124, v127, 0x3ee437d1, v107 :: v_dual_add_f32 v105, v105, v106
	v_fma_f32 v107, 0x3ee437d1, v127, -v107
	v_add_f32_e32 v106, v110, v114
	v_mul_f32_e32 v114, 0xbf06c442, v128
	s_delay_alu instid0(VALU_DEP_4) | instskip(SKIP_2) | instid1(VALU_DEP_4)
	v_add_f32_e32 v110, v124, v115
	v_dual_mul_f32 v124, 0xbf59a7d5, v45 :: v_dual_add_f32 v125, v125, v131
	v_add_f32_e32 v107, v107, v112
	v_fmamk_f32 v129, v127, 0xbf59a7d5, v114
	v_fma_f32 v114, 0xbf59a7d5, v127, -v114
	s_delay_alu instid0(VALU_DEP_4) | instskip(SKIP_2) | instid1(VALU_DEP_4)
	v_fmamk_f32 v112, v44, 0x3f06c442, v124
	v_fmac_f32_e32 v124, 0xbf06c442, v44
	v_add_f32_e32 v108, v108, v111
	v_add_f32_e32 v114, v114, v117
	s_delay_alu instid0(VALU_DEP_4) | instskip(NEXT) | instid1(VALU_DEP_4)
	v_add_f32_e32 v112, v112, v122
	v_dual_add_f32 v117, v124, v118 :: v_dual_mul_f32 v118, 0x3f2c7751, v128
	v_mul_f32_e32 v111, 0x3ee437d1, v45
	s_delay_alu instid0(VALU_DEP_1) | instskip(SKIP_1) | instid1(VALU_DEP_2)
	v_fmamk_f32 v115, v44, 0x3f65296c, v111
	v_fmac_f32_e32 v111, 0xbf65296c, v44
	v_add_f32_e32 v115, v115, v116
	s_delay_alu instid0(VALU_DEP_2) | instskip(SKIP_3) | instid1(VALU_DEP_2)
	v_add_f32_e32 v111, v111, v113
	v_dual_add_f32 v113, v129, v119 :: v_dual_mul_f32 v116, 0x3f4c4adb, v128
	v_mul_f32_e32 v119, 0xbf1a4643, v45
	v_mul_f32_e32 v45, 0x3f3d2fb0, v45
	v_fmamk_f32 v124, v44, 0xbf4c4adb, v119
	s_delay_alu instid0(VALU_DEP_4) | instskip(SKIP_2) | instid1(VALU_DEP_3)
	v_fmamk_f32 v122, v127, 0xbf1a4643, v116
	v_fma_f32 v116, 0xbf1a4643, v127, -v116
	v_fmac_f32_e32 v119, 0x3f4c4adb, v44
	v_dual_add_f32 v123, v124, v123 :: v_dual_add_f32 v120, v122, v120
	v_fmamk_f32 v122, v127, 0x3f3d2fb0, v118
	s_delay_alu instid0(VALU_DEP_4)
	v_add_f32_e32 v116, v116, v121
	v_fmamk_f32 v124, v44, 0xbf2c7751, v45
	v_fma_f32 v118, 0x3f3d2fb0, v127, -v118
	v_fmac_f32_e32 v45, 0x3f2c7751, v44
	v_add_f32_e32 v121, v122, v125
	v_dual_sub_f32 v122, v47, v49 :: v_dual_add_f32 v47, v49, v47
	v_dual_add_f32 v49, v48, v46 :: v_dual_sub_f32 v44, v46, v48
	v_add_f32_e32 v48, v124, v102
	s_delay_alu instid0(VALU_DEP_3) | instskip(NEXT) | instid1(VALU_DEP_4)
	v_mul_f32_e32 v125, 0xbf763a35, v122
	v_mul_f32_e32 v46, 0xbe8c1d8e, v47
	v_dual_add_f32 v92, v118, v92 :: v_dual_add_f32 v45, v45, v93
	v_mul_f32_e32 v118, 0x3f06c442, v122
	s_delay_alu instid0(VALU_DEP_4) | instskip(NEXT) | instid1(VALU_DEP_4)
	v_fmamk_f32 v102, v49, 0xbe8c1d8e, v125
	v_fmamk_f32 v93, v44, 0x3f763a35, v46
	v_fmac_f32_e32 v46, 0xbf763a35, v44
	v_mul_f32_e32 v124, 0xbf59a7d5, v47
	s_delay_alu instid0(VALU_DEP_4) | instskip(SKIP_3) | instid1(VALU_DEP_3)
	v_add_f32_e32 v94, v102, v94
	v_fma_f32 v102, 0xbe8c1d8e, v49, -v125
	v_add_f32_e32 v93, v93, v95
	v_dual_fmamk_f32 v95, v49, 0xbf59a7d5, v118 :: v_dual_add_f32 v46, v46, v50
	v_dual_mul_f32 v50, 0x3f2c7751, v122 :: v_dual_add_f32 v51, v102, v51
	v_fma_f32 v102, 0xbf59a7d5, v49, -v118
	s_delay_alu instid0(VALU_DEP_3) | instskip(SKIP_1) | instid1(VALU_DEP_4)
	v_dual_add_f32 v95, v95, v96 :: v_dual_fmamk_f32 v96, v44, 0xbf06c442, v124
	v_fmac_f32_e32 v124, 0x3f06c442, v44
	v_dual_fmamk_f32 v118, v49, 0x3f3d2fb0, v50 :: v_dual_mul_f32 v125, 0x3f3d2fb0, v47
	v_fma_f32 v50, 0x3f3d2fb0, v49, -v50
	s_delay_alu instid0(VALU_DEP_4) | instskip(NEXT) | instid1(VALU_DEP_4)
	v_add_f32_e32 v96, v96, v98
	v_dual_add_f32 v98, v102, v99 :: v_dual_add_f32 v99, v124, v100
	s_delay_alu instid0(VALU_DEP_4)
	v_add_f32_e32 v100, v118, v104
	v_fmamk_f32 v102, v44, 0xbf2c7751, v125
	v_mul_f32_e32 v104, 0xbf65296c, v122
	v_fmac_f32_e32 v125, 0x3f2c7751, v44
	v_mul_f32_e32 v118, 0x3ee437d1, v47
	v_add_f32_e32 v50, v50, v97
	s_delay_alu instid0(VALU_DEP_4) | instskip(NEXT) | instid1(VALU_DEP_4)
	v_dual_add_f32 v101, v102, v101 :: v_dual_fmamk_f32 v102, v49, 0x3ee437d1, v104
	v_add_f32_e32 v97, v125, v103
	s_delay_alu instid0(VALU_DEP_4) | instskip(SKIP_3) | instid1(VALU_DEP_4)
	v_fmamk_f32 v103, v44, 0x3f65296c, v118
	v_mul_f32_e32 v124, 0xbe3c28d5, v122
	v_fma_f32 v104, 0x3ee437d1, v49, -v104
	v_fmac_f32_e32 v118, 0xbf65296c, v44
	v_dual_add_f32 v102, v102, v109 :: v_dual_add_f32 v103, v103, v108
	s_delay_alu instid0(VALU_DEP_2) | instskip(SKIP_4) | instid1(VALU_DEP_3)
	v_dual_add_f32 v104, v104, v105 :: v_dual_add_f32 v105, v118, v106
	v_mul_f32_e32 v106, 0x3f7ee86f, v122
	v_fma_f32 v118, 0xbf7ba420, v49, -v124
	v_mul_f32_e32 v109, 0xbf7ba420, v47
	v_mul_f32_e32 v125, 0x3dbcf732, v47
	v_add_f32_e32 v107, v118, v107
	v_mul_f32_e32 v118, 0x3f6eb680, v47
	v_fmamk_f32 v108, v49, 0xbf7ba420, v124
	v_fmamk_f32 v124, v49, 0x3dbcf732, v106
	v_fma_f32 v106, 0x3dbcf732, v49, -v106
	s_delay_alu instid0(VALU_DEP_3) | instskip(SKIP_1) | instid1(VALU_DEP_3)
	v_dual_mul_f32 v47, 0xbf1a4643, v47 :: v_dual_add_f32 v108, v108, v110
	v_fmamk_f32 v110, v44, 0x3e3c28d5, v109
	v_dual_fmac_f32 v109, 0xbe3c28d5, v44 :: v_dual_add_f32 v106, v106, v114
	v_dual_add_f32 v119, v119, v126 :: v_dual_fmamk_f32 v114, v44, 0x3eb8f4ab, v118
	s_delay_alu instid0(VALU_DEP_3) | instskip(NEXT) | instid1(VALU_DEP_3)
	v_add_f32_e32 v110, v110, v115
	v_add_f32_e32 v109, v109, v111
	;; [unrolled: 1-line block ×3, first 2 shown]
	v_fmamk_f32 v113, v44, 0xbf7ee86f, v125
	v_mul_f32_e32 v115, 0xbeb8f4ab, v122
	v_mul_f32_e32 v122, 0xbf4c4adb, v122
	v_fmac_f32_e32 v118, 0xbeb8f4ab, v44
	v_add_f32_e32 v114, v114, v123
	v_add_f32_e32 v112, v113, v112
	v_fmamk_f32 v113, v49, 0x3f6eb680, v115
	v_fma_f32 v115, 0x3f6eb680, v49, -v115
	s_delay_alu instid0(VALU_DEP_1) | instskip(SKIP_1) | instid1(VALU_DEP_4)
	v_dual_add_f32 v118, v118, v119 :: v_dual_add_f32 v115, v115, v116
	v_dual_sub_f32 v116, v37, v43 :: v_dual_add_f32 v37, v43, v37
	v_add_f32_e32 v113, v113, v120
	v_fmamk_f32 v120, v49, 0xbf1a4643, v122
	v_fma_f32 v43, 0xbf1a4643, v49, -v122
	s_delay_alu instid0(VALU_DEP_4) | instskip(NEXT) | instid1(VALU_DEP_3)
	v_mul_f32_e32 v123, 0xbf4c4adb, v116
	v_add_f32_e32 v119, v120, v121
	v_dual_add_f32 v121, v42, v36 :: v_dual_sub_f32 v36, v36, v42
	v_fmamk_f32 v120, v44, 0x3f4c4adb, v47
	v_fmac_f32_e32 v125, 0x3f7ee86f, v44
	s_delay_alu instid0(VALU_DEP_3) | instskip(SKIP_1) | instid1(VALU_DEP_4)
	v_dual_add_f32 v43, v43, v92 :: v_dual_fmamk_f32 v42, v121, 0xbf1a4643, v123
	v_fma_f32 v92, 0xbf1a4643, v121, -v123
	v_add_f32_e32 v48, v120, v48
	s_delay_alu instid0(VALU_DEP_3)
	v_add_f32_e32 v42, v42, v94
	v_mul_f32_e32 v94, 0xbe8c1d8e, v37
	v_fmac_f32_e32 v47, 0xbf4c4adb, v44
	v_dual_mul_f32 v44, 0xbf1a4643, v37 :: v_dual_add_f32 v51, v92, v51
	v_mul_f32_e32 v92, 0xbeb8f4ab, v116
	v_mul_f32_e32 v49, 0x3f763a35, v116
	s_delay_alu instid0(VALU_DEP_4) | instskip(NEXT) | instid1(VALU_DEP_4)
	v_add_f32_e32 v45, v47, v45
	v_fmamk_f32 v47, v36, 0x3f4c4adb, v44
	s_delay_alu instid0(VALU_DEP_1) | instskip(NEXT) | instid1(VALU_DEP_1)
	v_dual_fmac_f32 v44, 0xbf4c4adb, v36 :: v_dual_add_f32 v47, v47, v93
	v_add_f32_e32 v44, v44, v46
	v_fmamk_f32 v46, v36, 0xbf763a35, v94
	v_fmamk_f32 v93, v121, 0xbe8c1d8e, v49
	v_fmac_f32_e32 v94, 0x3f763a35, v36
	v_fma_f32 v49, 0xbe8c1d8e, v121, -v49
	s_delay_alu instid0(VALU_DEP_4) | instskip(NEXT) | instid1(VALU_DEP_4)
	v_add_f32_e32 v46, v46, v96
	v_dual_mul_f32 v96, 0x3f6eb680, v37 :: v_dual_add_f32 v93, v93, v95
	s_delay_alu instid0(VALU_DEP_4) | instskip(SKIP_1) | instid1(VALU_DEP_3)
	v_dual_fmamk_f32 v95, v121, 0x3f6eb680, v92 :: v_dual_add_f32 v94, v94, v99
	v_fma_f32 v92, 0x3f6eb680, v121, -v92
	v_fmamk_f32 v99, v36, 0x3eb8f4ab, v96
	v_dual_fmac_f32 v96, 0xbeb8f4ab, v36 :: v_dual_add_f32 v49, v49, v98
	v_mul_f32_e32 v98, 0xbf06c442, v116
	s_delay_alu instid0(VALU_DEP_4) | instskip(NEXT) | instid1(VALU_DEP_3)
	v_dual_add_f32 v50, v92, v50 :: v_dual_add_f32 v95, v95, v100
	v_add_f32_e32 v92, v96, v97
	v_add_f32_e32 v117, v125, v117
	s_delay_alu instid0(VALU_DEP_4) | instskip(SKIP_1) | instid1(VALU_DEP_2)
	v_dual_fmamk_f32 v100, v121, 0xbf59a7d5, v98 :: v_dual_add_f32 v99, v99, v101
	v_fma_f32 v98, 0xbf59a7d5, v121, -v98
	v_add_f32_e32 v96, v100, v102
	v_mul_f32_e32 v100, 0x3f7ee86f, v116
	v_mul_f32_e32 v120, 0xbf59a7d5, v37
	s_delay_alu instid0(VALU_DEP_4) | instskip(NEXT) | instid1(VALU_DEP_2)
	v_dual_mul_f32 v101, 0x3dbcf732, v37 :: v_dual_add_f32 v98, v98, v104
	v_fmamk_f32 v97, v36, 0x3f06c442, v120
	v_fmac_f32_e32 v120, 0xbf06c442, v36
	s_delay_alu instid0(VALU_DEP_3)
	v_fmamk_f32 v104, v36, 0xbf7ee86f, v101
	v_fmamk_f32 v102, v121, 0x3dbcf732, v100
	v_fma_f32 v100, 0x3dbcf732, v121, -v100
	v_add_f32_e32 v97, v97, v103
	v_add_f32_e32 v103, v120, v105
	v_mul_f32_e32 v105, 0xbf2c7751, v116
	v_add_f32_e32 v102, v102, v108
	v_dual_fmac_f32 v101, 0x3f7ee86f, v36 :: v_dual_add_f32 v104, v104, v110
	v_mul_f32_e32 v110, 0x3f3d2fb0, v37
	s_delay_alu instid0(VALU_DEP_4) | instskip(SKIP_1) | instid1(VALU_DEP_4)
	v_fmamk_f32 v108, v121, 0x3f3d2fb0, v105
	v_dual_add_f32 v100, v100, v107 :: v_dual_mul_f32 v107, 0xbe3c28d5, v116
	v_add_f32_e32 v101, v101, v109
	s_delay_alu instid0(VALU_DEP_4) | instskip(NEXT) | instid1(VALU_DEP_4)
	v_fmamk_f32 v109, v36, 0x3f2c7751, v110
	v_add_f32_e32 v108, v108, v111
	v_fma_f32 v105, 0x3f3d2fb0, v121, -v105
	v_fmac_f32_e32 v110, 0xbf2c7751, v36
	v_dual_fmamk_f32 v111, v121, 0xbf7ba420, v107 :: v_dual_mul_f32 v120, 0xbf7ba420, v37
	v_mul_f32_e32 v37, 0x3ee437d1, v37
	s_delay_alu instid0(VALU_DEP_3) | instskip(NEXT) | instid1(VALU_DEP_3)
	v_dual_add_f32 v105, v105, v106 :: v_dual_add_f32 v106, v110, v117
	v_dual_add_f32 v110, v111, v113 :: v_dual_fmamk_f32 v111, v36, 0x3e3c28d5, v120
	s_delay_alu instid0(VALU_DEP_1) | instskip(NEXT) | instid1(VALU_DEP_4)
	v_dual_fmac_f32 v120, 0xbe3c28d5, v36 :: v_dual_add_f32 v111, v111, v114
	v_fmamk_f32 v114, v36, 0xbf65296c, v37
	s_delay_alu instid0(VALU_DEP_1) | instskip(SKIP_4) | instid1(VALU_DEP_3)
	v_add_f32_e32 v48, v114, v48
	v_dual_add_f32 v114, v40, v38 :: v_dual_add_f32 v109, v109, v112
	v_mul_f32_e32 v112, 0x3f65296c, v116
	v_dual_sub_f32 v116, v39, v41 :: v_dual_add_f32 v39, v41, v39
	v_fmac_f32_e32 v37, 0x3f65296c, v36
	v_dual_sub_f32 v36, v38, v40 :: v_dual_fmamk_f32 v113, v121, 0x3ee437d1, v112
	v_fma_f32 v112, 0x3ee437d1, v121, -v112
	s_delay_alu instid0(VALU_DEP_4) | instskip(SKIP_2) | instid1(VALU_DEP_4)
	v_mul_f32_e32 v38, 0xbf59a7d5, v39
	v_mul_f32_e32 v41, 0xbf06c442, v116
	v_add_f32_e32 v37, v37, v45
	v_add_f32_e32 v43, v112, v43
	s_delay_alu instid0(VALU_DEP_4) | instskip(NEXT) | instid1(VALU_DEP_4)
	v_fmamk_f32 v112, v36, 0x3f06c442, v38
	v_fmamk_f32 v40, v114, 0xbf59a7d5, v41
	v_fma_f32 v41, 0xbf59a7d5, v114, -v41
	v_mul_f32_e32 v45, 0x3f65296c, v116
	s_delay_alu instid0(VALU_DEP_4) | instskip(SKIP_1) | instid1(VALU_DEP_4)
	v_dual_fmac_f32 v38, 0xbf06c442, v36 :: v_dual_add_f32 v47, v112, v47
	v_mul_f32_e32 v112, 0x3ee437d1, v39
	v_dual_add_f32 v41, v41, v51 :: v_dual_add_f32 v40, v40, v42
	s_delay_alu instid0(VALU_DEP_4) | instskip(NEXT) | instid1(VALU_DEP_3)
	v_fmamk_f32 v42, v114, 0x3ee437d1, v45
	v_dual_add_f32 v38, v38, v44 :: v_dual_fmamk_f32 v51, v36, 0xbf65296c, v112
	v_mul_f32_e32 v44, 0xbf7ee86f, v116
	v_fma_f32 v45, 0x3ee437d1, v114, -v45
	s_delay_alu instid0(VALU_DEP_4) | instskip(NEXT) | instid1(VALU_DEP_4)
	v_dual_add_f32 v42, v42, v93 :: v_dual_mul_f32 v93, 0x3dbcf732, v39
	v_add_f32_e32 v46, v51, v46
	v_fma_f32 v107, 0xbf7ba420, v121, -v107
	v_fmac_f32_e32 v112, 0x3f65296c, v36
	s_delay_alu instid0(VALU_DEP_4) | instskip(SKIP_1) | instid1(VALU_DEP_4)
	v_fmamk_f32 v51, v36, 0x3f7ee86f, v93
	v_fmac_f32_e32 v93, 0xbf7ee86f, v36
	v_add_f32_e32 v107, v107, v115
	v_add_f32_e32 v115, v120, v118
	v_fmamk_f32 v117, v114, 0x3dbcf732, v44
	v_fma_f32 v44, 0x3dbcf732, v114, -v44
	s_delay_alu instid0(VALU_DEP_1)
	v_dual_add_f32 v51, v51, v99 :: v_dual_add_f32 v44, v44, v50
	v_add_f32_e32 v50, v93, v92
	v_dual_mul_f32 v92, 0xbeb8f4ab, v116 :: v_dual_add_f32 v45, v45, v49
	v_dual_add_f32 v49, v112, v94 :: v_dual_add_f32 v94, v117, v95
	v_mul_f32_e32 v95, 0x3f4c4adb, v116
	v_add_f32_e32 v113, v113, v119
	s_delay_alu instid0(VALU_DEP_2) | instskip(SKIP_1) | instid1(VALU_DEP_2)
	v_dual_mul_f32 v99, 0xbf1a4643, v39 :: v_dual_fmamk_f32 v112, v114, 0xbf1a4643, v95
	v_fma_f32 v95, 0xbf1a4643, v114, -v95
	v_fmamk_f32 v93, v36, 0xbf4c4adb, v99
	v_fmac_f32_e32 v99, 0x3f4c4adb, v36
	s_delay_alu instid0(VALU_DEP_4) | instskip(NEXT) | instid1(VALU_DEP_4)
	v_add_f32_e32 v96, v112, v96
	v_dual_fmamk_f32 v112, v114, 0x3f6eb680, v92 :: v_dual_add_f32 v95, v95, v98
	s_delay_alu instid0(VALU_DEP_3) | instskip(SKIP_1) | instid1(VALU_DEP_3)
	v_add_f32_e32 v98, v99, v103
	v_fma_f32 v92, 0x3f6eb680, v114, -v92
	v_dual_add_f32 v99, v112, v102 :: v_dual_mul_f32 v102, 0xbe3c28d5, v116
	v_dual_mul_f32 v112, 0xbf7ba420, v39 :: v_dual_add_f32 v93, v93, v97
	s_delay_alu instid0(VALU_DEP_3) | instskip(NEXT) | instid1(VALU_DEP_3)
	v_dual_mul_f32 v97, 0x3f6eb680, v39 :: v_dual_add_f32 v92, v92, v100
	v_fmamk_f32 v117, v114, 0xbf7ba420, v102
	s_delay_alu instid0(VALU_DEP_3) | instskip(SKIP_1) | instid1(VALU_DEP_4)
	v_fmamk_f32 v100, v36, 0x3e3c28d5, v112
	v_fma_f32 v102, 0xbf7ba420, v114, -v102
	v_fmamk_f32 v103, v36, 0x3eb8f4ab, v97
	v_fmac_f32_e32 v97, 0xbeb8f4ab, v36
	v_fmac_f32_e32 v112, 0xbe3c28d5, v36
	v_add_f32_e32 v100, v100, v109
	v_add_f32_e32 v102, v102, v105
	s_delay_alu instid0(VALU_DEP_4) | instskip(NEXT) | instid1(VALU_DEP_4)
	v_add_f32_e32 v97, v97, v101
	v_dual_add_f32 v105, v112, v106 :: v_dual_mul_f32 v106, 0xbf763a35, v116
	v_dual_add_f32 v101, v117, v108 :: v_dual_mul_f32 v108, 0x3f3d2fb0, v39
	v_add_f32_e32 v103, v103, v104
	v_mul_f32_e32 v104, 0x3f2c7751, v116
	v_mul_f32_e32 v39, 0xbe8c1d8e, v39
	s_delay_alu instid0(VALU_DEP_4) | instskip(SKIP_1) | instid1(VALU_DEP_4)
	v_fmamk_f32 v112, v36, 0xbf2c7751, v108
	v_fmac_f32_e32 v108, 0x3f2c7751, v36
	v_fmamk_f32 v109, v114, 0x3f3d2fb0, v104
	v_fma_f32 v104, 0x3f3d2fb0, v114, -v104
	s_delay_alu instid0(VALU_DEP_2) | instskip(NEXT) | instid1(VALU_DEP_2)
	v_dual_add_f32 v109, v109, v110 :: v_dual_fmamk_f32 v110, v114, 0xbe8c1d8e, v106
	v_add_f32_e32 v104, v104, v107
	v_add_f32_e32 v107, v108, v115
	v_fma_f32 v106, 0xbe8c1d8e, v114, -v106
	v_add_f32_e32 v114, v34, v32
	v_add_f32_e32 v108, v110, v113
	v_dual_sub_f32 v110, v33, v35 :: v_dual_add_f32 v113, v35, v33
	s_delay_alu instid0(VALU_DEP_4) | instskip(NEXT) | instid1(VALU_DEP_2)
	v_dual_sub_f32 v115, v32, v34 :: v_dual_add_f32 v106, v106, v43
	v_mul_f32_e32 v33, 0xbe3c28d5, v110
	s_delay_alu instid0(VALU_DEP_3)
	v_mul_f32_e32 v35, 0xbf7ba420, v113
	v_add_f32_e32 v111, v112, v111
	v_fmamk_f32 v112, v36, 0x3f763a35, v39
	v_fmac_f32_e32 v39, 0xbf763a35, v36
	v_fma_f32 v36, 0xbf7ba420, v114, -v33
	v_fmamk_f32 v34, v115, 0x3e3c28d5, v35
	v_fmamk_f32 v32, v114, 0xbf7ba420, v33
	s_delay_alu instid0(VALU_DEP_4) | instskip(SKIP_1) | instid1(VALU_DEP_4)
	v_dual_fmac_f32 v35, 0xbe3c28d5, v115 :: v_dual_add_f32 v116, v39, v37
	v_mul_f32_e32 v37, 0x3eb8f4ab, v110
	v_dual_add_f32 v33, v34, v47 :: v_dual_add_f32 v34, v36, v41
	s_delay_alu instid0(VALU_DEP_4) | instskip(NEXT) | instid1(VALU_DEP_3)
	v_dual_mul_f32 v41, 0xbf06c442, v110 :: v_dual_add_f32 v32, v32, v40
	v_fmamk_f32 v39, v114, 0x3f6eb680, v37
	v_dual_add_f32 v35, v35, v38 :: v_dual_add_f32 v112, v112, v48
	s_delay_alu instid0(VALU_DEP_2) | instskip(NEXT) | instid1(VALU_DEP_4)
	v_add_f32_e32 v36, v39, v42
	v_fmamk_f32 v42, v114, 0xbf59a7d5, v41
	v_mul_f32_e32 v40, 0x3f6eb680, v113
	v_fma_f32 v39, 0x3f6eb680, v114, -v37
	v_mul_f32_e32 v47, 0x3f3d2fb0, v113
	v_mul_f32_e32 v43, 0xbf59a7d5, v113
	s_delay_alu instid0(VALU_DEP_4) | instskip(NEXT) | instid1(VALU_DEP_1)
	v_fmamk_f32 v38, v115, 0xbeb8f4ab, v40
	v_dual_add_f32 v37, v38, v46 :: v_dual_add_f32 v38, v39, v45
	v_mul_f32_e32 v45, 0x3f2c7751, v110
	v_fma_f32 v46, 0xbf59a7d5, v114, -v41
	s_delay_alu instid0(VALU_DEP_2) | instskip(SKIP_1) | instid1(VALU_DEP_1)
	v_fmamk_f32 v48, v114, 0x3f3d2fb0, v45
	v_fmac_f32_e32 v40, 0x3eb8f4ab, v115
	v_dual_add_f32 v39, v40, v49 :: v_dual_add_f32 v40, v42, v94
	v_fmamk_f32 v42, v115, 0x3f06c442, v43
	v_fmac_f32_e32 v43, 0xbf06c442, v115
	v_mul_f32_e32 v49, 0xbf4c4adb, v110
	s_delay_alu instid0(VALU_DEP_3)
	v_add_f32_e32 v41, v42, v51
	v_add_f32_e32 v42, v46, v44
	v_fmamk_f32 v46, v115, 0xbf2c7751, v47
	v_add_f32_e32 v44, v48, v96
	v_dual_mul_f32 v96, 0x3ee437d1, v113 :: v_dual_add_f32 v43, v43, v50
	v_fma_f32 v48, 0x3f3d2fb0, v114, -v45
	s_delay_alu instid0(VALU_DEP_4) | instskip(SKIP_1) | instid1(VALU_DEP_3)
	v_add_f32_e32 v45, v46, v93
	v_dual_fmamk_f32 v50, v114, 0xbf1a4643, v49 :: v_dual_mul_f32 v51, 0xbf1a4643, v113
	v_dual_mul_f32 v93, 0x3f65296c, v110 :: v_dual_add_f32 v46, v48, v95
	v_fma_f32 v94, 0xbf1a4643, v114, -v49
	s_delay_alu instid0(VALU_DEP_3) | instskip(NEXT) | instid1(VALU_DEP_4)
	v_add_f32_e32 v48, v50, v99
	v_fmamk_f32 v50, v115, 0x3f4c4adb, v51
	v_fmac_f32_e32 v51, 0xbf4c4adb, v115
	v_fmamk_f32 v95, v114, 0x3ee437d1, v93
	v_fmac_f32_e32 v47, 0x3f2c7751, v115
	v_mul_f32_e32 v99, 0xbe8c1d8e, v113
	v_add_f32_e32 v49, v50, v103
	v_dual_add_f32 v50, v94, v92 :: v_dual_add_f32 v51, v51, v97
	v_add_f32_e32 v92, v95, v101
	v_fmamk_f32 v94, v115, 0xbf65296c, v96
	v_mul_f32_e32 v97, 0xbf763a35, v110
	v_fma_f32 v95, 0x3ee437d1, v114, -v93
	v_dual_add_f32 v47, v47, v98 :: v_dual_fmac_f32 v96, 0x3f65296c, v115
	s_delay_alu instid0(VALU_DEP_4) | instskip(NEXT) | instid1(VALU_DEP_4)
	v_add_f32_e32 v93, v94, v100
	v_fmamk_f32 v98, v114, 0xbe8c1d8e, v97
	s_delay_alu instid0(VALU_DEP_4)
	v_add_f32_e32 v94, v95, v102
	v_fmamk_f32 v100, v115, 0x3f763a35, v99
	v_fma_f32 v101, 0xbe8c1d8e, v114, -v97
	v_mul_f32_e32 v102, 0x3f7ee86f, v110
	v_mul_f32_e32 v103, 0x3dbcf732, v113
	v_add_f32_e32 v95, v96, v105
	v_dual_add_f32 v96, v98, v109 :: v_dual_add_f32 v97, v100, v111
	v_add_f32_e32 v98, v101, v104
	v_fmamk_f32 v100, v114, 0x3dbcf732, v102
	v_fmamk_f32 v101, v115, 0xbf7ee86f, v103
	v_fma_f32 v102, 0x3dbcf732, v114, -v102
	v_fmac_f32_e32 v103, 0x3f7ee86f, v115
	s_delay_alu instid0(VALU_DEP_4) | instskip(NEXT) | instid1(VALU_DEP_3)
	v_dual_fmac_f32 v99, 0xbf763a35, v115 :: v_dual_add_f32 v100, v100, v108
	v_dual_add_f32 v101, v101, v112 :: v_dual_add_f32 v102, v102, v106
	s_delay_alu instid0(VALU_DEP_3) | instskip(NEXT) | instid1(VALU_DEP_3)
	v_add_f32_e32 v103, v103, v116
	v_add_f32_e32 v99, v99, v107
	ds_store_2addr_b64 v91, v[87:88], v[32:33] offset1:1
	ds_store_2addr_b64 v91, v[36:37], v[40:41] offset0:2 offset1:3
	ds_store_2addr_b64 v91, v[44:45], v[48:49] offset0:4 offset1:5
	;; [unrolled: 1-line block ×7, first 2 shown]
	ds_store_b64 v91, v[34:35] offset:128
	global_wb scope:SCOPE_SE
	s_wait_dscnt 0x0
	s_barrier_signal -1
	s_barrier_wait -1
	global_inv scope:SCOPE_SE
	ds_load_2addr_b64 v[32:35], v90 offset1:17
	ds_load_2addr_b64 v[36:39], v90 offset0:34 offset1:51
	ds_load_2addr_b64 v[40:43], v90 offset0:68 offset1:85
	;; [unrolled: 1-line block ×7, first 2 shown]
	ds_load_b64 v[87:88], v90 offset:2176
	s_wait_dscnt 0x8
	v_mul_f32_e32 v103, v29, v35
	v_mul_f32_e32 v29, v29, v34
	s_wait_dscnt 0x7
	s_delay_alu instid0(VALU_DEP_2) | instskip(SKIP_1) | instid1(VALU_DEP_3)
	v_dual_fmac_f32 v103, v28, v34 :: v_dual_mul_f32 v34, v31, v37
	v_mul_f32_e32 v31, v31, v36
	v_fma_f32 v29, v28, v35, -v29
	v_mul_f32_e32 v35, v25, v39
	s_wait_dscnt 0x6
	v_dual_mul_f32 v25, v25, v38 :: v_dual_mul_f32 v28, v27, v41
	v_mul_f32_e32 v27, v27, v40
	v_fmac_f32_e32 v34, v30, v36
	v_fma_f32 v30, v30, v37, -v31
	v_fmac_f32_e32 v35, v24, v38
	v_fma_f32 v31, v24, v39, -v25
	v_fmac_f32_e32 v28, v26, v40
	s_wait_dscnt 0x5
	v_mul_f32_e32 v24, v23, v45
	v_fma_f32 v26, v26, v41, -v27
	v_mul_f32_e32 v27, v23, v44
	v_mul_f32_e32 v25, v21, v43
	s_delay_alu instid0(VALU_DEP_4) | instskip(SKIP_1) | instid1(VALU_DEP_4)
	v_dual_mul_f32 v21, v21, v42 :: v_dual_fmac_f32 v24, v22, v44
	v_add_f32_e32 v36, v33, v29
	v_fma_f32 v22, v22, v45, -v27
	v_add_f32_e32 v27, v32, v103
	v_fmac_f32_e32 v25, v20, v42
	v_fma_f32 v23, v20, v43, -v21
	v_mul_f32_e32 v20, v5, v47
	v_mul_f32_e32 v5, v5, v46
	v_add_f32_e32 v27, v27, v34
	s_wait_dscnt 0x2
	v_dual_add_f32 v36, v36, v30 :: v_dual_mul_f32 v37, v9, v97
	v_fmac_f32_e32 v20, v4, v46
	v_fma_f32 v21, v4, v47, -v5
	v_add_f32_e32 v27, v27, v35
	v_mul_f32_e32 v4, v7, v49
	v_mul_f32_e32 v7, v7, v48
	;; [unrolled: 1-line block ×3, first 2 shown]
	s_delay_alu instid0(VALU_DEP_4) | instskip(NEXT) | instid1(VALU_DEP_4)
	v_dual_add_f32 v36, v36, v31 :: v_dual_add_f32 v27, v27, v28
	v_fmac_f32_e32 v4, v6, v48
	s_delay_alu instid0(VALU_DEP_4)
	v_fma_f32 v6, v6, v49, -v7
	v_mul_f32_e32 v7, v17, v50
	v_mul_f32_e32 v17, v19, v92
	;; [unrolled: 1-line block ×3, first 2 shown]
	v_add_f32_e32 v27, v27, v25
	v_fmac_f32_e32 v5, v16, v50
	v_add_f32_e32 v36, v36, v26
	v_fma_f32 v7, v16, v51, -v7
	v_fma_f32 v16, v18, v92, -v19
	v_add_f32_e32 v19, v27, v24
	v_fmac_f32_e32 v17, v18, v91
	v_add_f32_e32 v36, v36, v23
	s_delay_alu instid0(VALU_DEP_3) | instskip(NEXT) | instid1(VALU_DEP_2)
	v_dual_mul_f32 v18, v13, v94 :: v_dual_add_f32 v19, v19, v20
	v_dual_add_f32 v27, v36, v22 :: v_dual_mul_f32 v36, v13, v93
	v_mul_f32_e32 v13, v15, v96
	v_mul_f32_e32 v15, v15, v95
	s_delay_alu instid0(VALU_DEP_4) | instskip(NEXT) | instid1(VALU_DEP_4)
	v_dual_add_f32 v19, v19, v4 :: v_dual_fmac_f32 v18, v12, v93
	v_fma_f32 v12, v12, v94, -v36
	s_delay_alu instid0(VALU_DEP_4) | instskip(NEXT) | instid1(VALU_DEP_4)
	v_dual_fmac_f32 v13, v14, v95 :: v_dual_mul_f32 v36, v9, v98
	v_fma_f32 v9, v14, v96, -v15
	s_delay_alu instid0(VALU_DEP_4)
	v_add_f32_e32 v14, v19, v5
	s_wait_dscnt 0x1
	v_mul_f32_e32 v19, v11, v100
	v_dual_mul_f32 v11, v11, v99 :: v_dual_fmac_f32 v36, v8, v97
	v_fma_f32 v8, v8, v98, -v37
	v_add_f32_e32 v14, v14, v17
	s_delay_alu instid0(VALU_DEP_4) | instskip(NEXT) | instid1(VALU_DEP_4)
	v_fmac_f32_e32 v19, v10, v99
	v_fma_f32 v10, v10, v100, -v11
	s_wait_dscnt 0x0
	v_mul_f32_e32 v11, v3, v87
	v_dual_mul_f32 v3, v3, v88 :: v_dual_add_f32 v14, v14, v18
	s_delay_alu instid0(VALU_DEP_2) | instskip(NEXT) | instid1(VALU_DEP_2)
	v_fma_f32 v11, v2, v88, -v11
	v_fmac_f32_e32 v3, v2, v87
	s_delay_alu instid0(VALU_DEP_2) | instskip(NEXT) | instid1(VALU_DEP_2)
	v_dual_add_f32 v14, v14, v13 :: v_dual_sub_f32 v37, v29, v11
	v_sub_f32_e32 v38, v103, v3
	s_delay_alu instid0(VALU_DEP_2) | instskip(NEXT) | instid1(VALU_DEP_3)
	v_add_f32_e32 v14, v14, v36
	v_mul_f32_e32 v92, 0xbf4c4adb, v37
	v_add_f32_e32 v27, v27, v21
	v_mul_f32_e32 v97, 0xbf06c442, v37
	s_delay_alu instid0(VALU_DEP_2) | instskip(NEXT) | instid1(VALU_DEP_1)
	v_dual_mul_f32 v48, 0xbf7ee86f, v37 :: v_dual_add_f32 v27, v27, v6
	v_add_f32_e32 v15, v27, v7
	v_mul_f32_e32 v27, v1, v102
	v_mul_f32_e32 v1, v1, v101
	s_delay_alu instid0(VALU_DEP_3) | instskip(NEXT) | instid1(VALU_DEP_2)
	v_add_f32_e32 v15, v15, v16
	v_fma_f32 v2, v0, v102, -v1
	s_delay_alu instid0(VALU_DEP_4) | instskip(NEXT) | instid1(VALU_DEP_2)
	v_fmac_f32_e32 v27, v0, v101
	v_dual_add_f32 v15, v15, v12 :: v_dual_sub_f32 v102, v30, v2
	s_delay_alu instid0(VALU_DEP_1) | instskip(NEXT) | instid1(VALU_DEP_1)
	v_add_f32_e32 v15, v15, v9
	v_add_f32_e32 v15, v15, v8
	s_delay_alu instid0(VALU_DEP_1) | instskip(SKIP_1) | instid1(VALU_DEP_1)
	v_add_f32_e32 v1, v15, v10
	v_add_f32_e32 v15, v29, v11
	v_dual_add_f32 v1, v1, v2 :: v_dual_mul_f32 v98, 0xbf59a7d5, v15
	v_dual_mul_f32 v91, 0xbe8c1d8e, v15 :: v_dual_add_f32 v2, v30, v2
	v_add_f32_e32 v30, v34, v27
	v_mul_f32_e32 v42, 0x3f3d2fb0, v15
	s_delay_alu instid0(VALU_DEP_4) | instskip(SKIP_4) | instid1(VALU_DEP_4)
	v_fmamk_f32 v100, v38, 0x3f06c442, v98
	v_fmac_f32_e32 v98, 0xbf06c442, v38
	v_fmamk_f32 v93, v38, 0x3f763a35, v91
	v_mul_f32_e32 v94, 0xbf1a4643, v15
	v_dual_add_f32 v1, v1, v11 :: v_dual_mul_f32 v104, 0xbf1a4643, v2
	v_add_f32_e32 v98, v33, v98
	v_add_f32_e32 v0, v14, v19
	v_dual_add_f32 v14, v103, v3 :: v_dual_add_f32 v93, v33, v93
	v_mul_f32_e32 v45, 0x3ee437d1, v15
	s_delay_alu instid0(VALU_DEP_3) | instskip(NEXT) | instid1(VALU_DEP_3)
	v_dual_mul_f32 v51, 0xbf763a35, v37 :: v_dual_add_f32 v0, v0, v27
	v_fmamk_f32 v99, v14, 0xbf59a7d5, v97
	v_fmamk_f32 v95, v14, 0xbf1a4643, v92
	v_sub_f32_e32 v27, v34, v27
	s_delay_alu instid0(VALU_DEP_4) | instskip(NEXT) | instid1(VALU_DEP_4)
	v_dual_mul_f32 v43, 0xbf65296c, v37 :: v_dual_add_f32 v0, v0, v3
	v_add_f32_e32 v99, v32, v99
	v_fmamk_f32 v47, v38, 0x3f65296c, v45
	v_add_f32_e32 v95, v32, v95
	v_mul_f32_e32 v3, 0xbf2c7751, v37
	v_fmamk_f32 v50, v14, 0x3dbcf732, v48
	v_fma_f32 v48, 0x3dbcf732, v14, -v48
	v_add_f32_e32 v47, v33, v47
	v_mul_f32_e32 v29, 0xbeb8f4ab, v37
	v_mul_f32_e32 v37, 0xbe3c28d5, v37
	v_fmamk_f32 v96, v38, 0x3f4c4adb, v94
	v_dual_add_f32 v48, v32, v48 :: v_dual_mul_f32 v39, 0x3f6eb680, v15
	v_fmac_f32_e32 v94, 0xbf4c4adb, v38
	s_delay_alu instid0(VALU_DEP_4)
	v_fmamk_f32 v101, v14, 0xbf7ba420, v37
	v_fmamk_f32 v40, v14, 0x3f6eb680, v29
	v_fma_f32 v29, 0x3f6eb680, v14, -v29
	v_fmamk_f32 v46, v14, 0x3ee437d1, v43
	v_fma_f32 v43, 0x3ee437d1, v14, -v43
	v_add_f32_e32 v101, v32, v101
	v_mul_f32_e32 v49, 0x3dbcf732, v15
	v_mul_f32_e32 v15, 0xbf7ba420, v15
	v_fmamk_f32 v88, v14, 0xbe8c1d8e, v51
	v_fma_f32 v51, 0xbe8c1d8e, v14, -v51
	v_fma_f32 v92, 0xbf1a4643, v14, -v92
	v_fmamk_f32 v87, v38, 0x3f7ee86f, v49
	v_fmamk_f32 v103, v38, 0x3e3c28d5, v15
	v_fmac_f32_e32 v15, 0xbe3c28d5, v38
	v_dual_add_f32 v94, v33, v94 :: v_dual_fmamk_f32 v41, v14, 0x3f3d2fb0, v3
	v_fma_f32 v3, 0x3f3d2fb0, v14, -v3
	v_fma_f32 v97, 0xbf59a7d5, v14, -v97
	;; [unrolled: 1-line block ×3, first 2 shown]
	v_mul_f32_e32 v37, 0xbf2c7751, v102
	v_add_f32_e32 v15, v33, v15
	v_dual_fmac_f32 v49, 0xbf7ee86f, v38 :: v_dual_add_f32 v40, v32, v40
	v_fmamk_f32 v44, v38, 0x3f2c7751, v42
	v_fmac_f32_e32 v42, 0xbf2c7751, v38
	v_fmac_f32_e32 v91, 0xbf763a35, v38
	s_delay_alu instid0(VALU_DEP_4)
	v_dual_add_f32 v49, v33, v49 :: v_dual_add_f32 v92, v32, v92
	v_fmamk_f32 v11, v38, 0x3eb8f4ab, v39
	v_dual_fmac_f32 v39, 0xbeb8f4ab, v38 :: v_dual_add_f32 v100, v33, v100
	v_fmac_f32_e32 v45, 0xbf65296c, v38
	v_mul_f32_e32 v34, 0x3f3d2fb0, v2
	v_dual_add_f32 v38, v33, v103 :: v_dual_fmamk_f32 v103, v30, 0x3f3d2fb0, v37
	v_add_f32_e32 v29, v32, v29
	v_add_f32_e32 v39, v33, v39
	;; [unrolled: 1-line block ×11, first 2 shown]
	v_fmamk_f32 v32, v27, 0x3f2c7751, v34
	v_add_f32_e32 v40, v103, v40
	v_fmac_f32_e32 v34, 0xbf2c7751, v27
	v_mul_f32_e32 v103, 0x3dbcf732, v2
	v_add_f32_e32 v11, v33, v11
	v_add_f32_e32 v44, v33, v44
	v_add_f32_e32 v42, v33, v42
	v_add_f32_e32 v45, v33, v45
	v_add_f32_e32 v87, v33, v87
	v_add_f32_e32 v91, v33, v91
	v_dual_add_f32 v96, v33, v96 :: v_dual_mul_f32 v33, 0xbf7ee86f, v102
	v_dual_add_f32 v34, v34, v39 :: v_dual_fmamk_f32 v39, v27, 0x3f7ee86f, v103
	v_fma_f32 v37, 0x3f3d2fb0, v30, -v37
	v_fmac_f32_e32 v103, 0xbf7ee86f, v27
	s_delay_alu instid0(VALU_DEP_3) | instskip(SKIP_2) | instid1(VALU_DEP_1)
	v_dual_add_f32 v39, v39, v44 :: v_dual_mul_f32 v44, 0xbe3c28d5, v102
	v_dual_add_f32 v11, v32, v11 :: v_dual_fmamk_f32 v32, v30, 0x3dbcf732, v33
	v_fma_f32 v33, 0x3dbcf732, v30, -v33
	v_dual_add_f32 v32, v32, v41 :: v_dual_add_f32 v3, v33, v3
	v_add_f32_e32 v33, v103, v42
	v_fmamk_f32 v42, v27, 0x3f4c4adb, v104
	v_dual_fmac_f32 v104, 0xbf4c4adb, v27 :: v_dual_add_f32 v29, v37, v29
	v_mul_f32_e32 v37, 0xbf4c4adb, v102
	s_delay_alu instid0(VALU_DEP_3) | instskip(SKIP_2) | instid1(VALU_DEP_4)
	v_dual_mul_f32 v103, 0x3f06c442, v102 :: v_dual_add_f32 v42, v42, v47
	v_fmamk_f32 v47, v30, 0xbf7ba420, v44
	v_fma_f32 v44, 0xbf7ba420, v30, -v44
	v_fmamk_f32 v41, v30, 0xbf1a4643, v37
	v_fma_f32 v37, 0xbf1a4643, v30, -v37
	s_delay_alu instid0(VALU_DEP_4) | instskip(NEXT) | instid1(VALU_DEP_3)
	v_dual_add_f32 v47, v47, v50 :: v_dual_fmamk_f32 v50, v30, 0xbf59a7d5, v103
	v_add_f32_e32 v41, v41, v46
	s_delay_alu instid0(VALU_DEP_3) | instskip(SKIP_3) | instid1(VALU_DEP_4)
	v_dual_mul_f32 v46, 0xbf7ba420, v2 :: v_dual_add_f32 v37, v37, v43
	v_add_f32_e32 v43, v104, v45
	v_add_f32_e32 v44, v44, v48
	v_mul_f32_e32 v48, 0x3f763a35, v102
	v_fmamk_f32 v45, v27, 0x3e3c28d5, v46
	v_fmac_f32_e32 v46, 0xbe3c28d5, v27
	s_delay_alu instid0(VALU_DEP_2) | instskip(NEXT) | instid1(VALU_DEP_2)
	v_dual_mul_f32 v104, 0xbe8c1d8e, v2 :: v_dual_add_f32 v45, v45, v87
	v_dual_mul_f32 v87, 0xbf59a7d5, v2 :: v_dual_add_f32 v46, v46, v49
	v_add_f32_e32 v49, v50, v88
	v_fma_f32 v88, 0xbf59a7d5, v30, -v103
	v_fmamk_f32 v103, v30, 0xbe8c1d8e, v48
	s_delay_alu instid0(VALU_DEP_4) | instskip(SKIP_4) | instid1(VALU_DEP_4)
	v_fmamk_f32 v50, v27, 0xbf06c442, v87
	v_fmac_f32_e32 v87, 0x3f06c442, v27
	v_fma_f32 v48, 0xbe8c1d8e, v30, -v48
	v_add_f32_e32 v51, v88, v51
	v_add_f32_e32 v88, v103, v95
	v_dual_add_f32 v50, v50, v93 :: v_dual_add_f32 v87, v87, v91
	v_fmamk_f32 v91, v27, 0xbf763a35, v104
	v_mul_f32_e32 v93, 0x3f65296c, v102
	v_mul_f32_e32 v95, 0x3ee437d1, v2
	;; [unrolled: 1-line block ×3, first 2 shown]
	v_add_f32_e32 v48, v48, v92
	s_delay_alu instid0(VALU_DEP_4) | instskip(NEXT) | instid1(VALU_DEP_4)
	v_dual_add_f32 v91, v91, v96 :: v_dual_fmamk_f32 v96, v30, 0x3ee437d1, v93
	v_fmamk_f32 v92, v27, 0xbf65296c, v95
	v_fma_f32 v93, 0x3ee437d1, v30, -v93
	v_fmac_f32_e32 v95, 0x3f65296c, v27
	v_mul_f32_e32 v2, 0x3f6eb680, v2
	v_dual_add_f32 v96, v96, v99 :: v_dual_fmamk_f32 v99, v30, 0x3f6eb680, v102
	s_delay_alu instid0(VALU_DEP_3) | instskip(SKIP_2) | instid1(VALU_DEP_4)
	v_dual_add_f32 v92, v92, v100 :: v_dual_add_f32 v95, v95, v98
	v_add_f32_e32 v100, v35, v19
	v_fmac_f32_e32 v104, 0x3f763a35, v27
	v_add_f32_e32 v98, v99, v101
	v_fmamk_f32 v99, v27, 0xbeb8f4ab, v2
	v_dual_fmac_f32 v2, 0x3eb8f4ab, v27 :: v_dual_add_f32 v93, v93, v97
	v_sub_f32_e32 v97, v31, v10
	v_add_f32_e32 v10, v31, v10
	v_fma_f32 v30, 0x3f6eb680, v30, -v102
	v_sub_f32_e32 v19, v35, v19
	v_add_f32_e32 v35, v99, v38
	v_mul_f32_e32 v101, 0xbf65296c, v97
	v_mul_f32_e32 v31, 0x3ee437d1, v10
	v_add_f32_e32 v14, v30, v14
	v_add_f32_e32 v2, v2, v15
	v_mul_f32_e32 v30, 0xbf4c4adb, v97
	v_fmamk_f32 v27, v100, 0x3ee437d1, v101
	v_fma_f32 v38, 0x3ee437d1, v100, -v101
	v_mul_f32_e32 v99, 0xbe8c1d8e, v10
	s_delay_alu instid0(VALU_DEP_3) | instskip(SKIP_3) | instid1(VALU_DEP_3)
	v_dual_add_f32 v94, v104, v94 :: v_dual_add_f32 v15, v27, v40
	v_fmamk_f32 v27, v19, 0x3f65296c, v31
	v_fmac_f32_e32 v31, 0xbf65296c, v19
	v_dual_mul_f32 v40, 0xbf1a4643, v10 :: v_dual_add_f32 v29, v38, v29
	v_dual_mul_f32 v38, 0x3e3c28d5, v97 :: v_dual_add_f32 v11, v27, v11
	v_fmamk_f32 v27, v100, 0xbf1a4643, v30
	s_delay_alu instid0(VALU_DEP_4) | instskip(NEXT) | instid1(VALU_DEP_4)
	v_add_f32_e32 v31, v31, v34
	v_fmamk_f32 v34, v19, 0x3f4c4adb, v40
	v_fma_f32 v30, 0xbf1a4643, v100, -v30
	s_delay_alu instid0(VALU_DEP_4) | instskip(NEXT) | instid1(VALU_DEP_3)
	v_dual_fmac_f32 v40, 0xbf4c4adb, v19 :: v_dual_add_f32 v27, v27, v32
	v_add_f32_e32 v32, v34, v39
	v_dual_fmamk_f32 v34, v100, 0xbf7ba420, v38 :: v_dual_mul_f32 v39, 0xbf7ba420, v10
	s_delay_alu instid0(VALU_DEP_3) | instskip(SKIP_1) | instid1(VALU_DEP_3)
	v_dual_add_f32 v3, v30, v3 :: v_dual_add_f32 v30, v40, v33
	v_mul_f32_e32 v33, 0x3f763a35, v97
	v_add_f32_e32 v34, v34, v41
	s_delay_alu instid0(VALU_DEP_4) | instskip(SKIP_4) | instid1(VALU_DEP_4)
	v_fmamk_f32 v40, v19, 0xbe3c28d5, v39
	v_fma_f32 v38, 0xbf7ba420, v100, -v38
	v_fmac_f32_e32 v39, 0x3e3c28d5, v19
	v_fmamk_f32 v41, v100, 0xbe8c1d8e, v33
	v_fma_f32 v33, 0xbe8c1d8e, v100, -v33
	v_dual_add_f32 v40, v40, v42 :: v_dual_add_f32 v37, v38, v37
	s_delay_alu instid0(VALU_DEP_4) | instskip(NEXT) | instid1(VALU_DEP_4)
	v_add_f32_e32 v38, v39, v43
	v_add_f32_e32 v39, v41, v47
	v_fmamk_f32 v41, v19, 0xbf763a35, v99
	v_mul_f32_e32 v42, 0x3f2c7751, v97
	v_fmac_f32_e32 v99, 0x3f763a35, v19
	v_mul_f32_e32 v43, 0x3f3d2fb0, v10
	v_add_f32_e32 v33, v33, v44
	v_add_f32_e32 v41, v41, v45
	s_delay_alu instid0(VALU_DEP_4) | instskip(NEXT) | instid1(VALU_DEP_4)
	v_dual_fmamk_f32 v45, v100, 0x3f3d2fb0, v42 :: v_dual_add_f32 v44, v99, v46
	v_fmamk_f32 v46, v19, 0xbf2c7751, v43
	v_mul_f32_e32 v47, 0xbeb8f4ab, v97
	v_fma_f32 v42, 0x3f3d2fb0, v100, -v42
	s_delay_alu instid0(VALU_DEP_4) | instskip(NEXT) | instid1(VALU_DEP_4)
	v_add_f32_e32 v45, v45, v49
	v_dual_fmac_f32 v43, 0x3f2c7751, v19 :: v_dual_add_f32 v46, v46, v50
	s_delay_alu instid0(VALU_DEP_4) | instskip(NEXT) | instid1(VALU_DEP_4)
	v_dual_fmamk_f32 v49, v100, 0x3f6eb680, v47 :: v_dual_mul_f32 v50, 0x3f6eb680, v10
	v_dual_add_f32 v42, v42, v51 :: v_dual_mul_f32 v51, 0xbf7ee86f, v97
	s_delay_alu instid0(VALU_DEP_3) | instskip(NEXT) | instid1(VALU_DEP_3)
	v_add_f32_e32 v43, v43, v87
	v_add_f32_e32 v49, v49, v88
	s_delay_alu instid0(VALU_DEP_4) | instskip(SKIP_3) | instid1(VALU_DEP_3)
	v_fmamk_f32 v87, v19, 0x3eb8f4ab, v50
	v_fma_f32 v47, 0x3f6eb680, v100, -v47
	v_fmac_f32_e32 v50, 0xbeb8f4ab, v19
	v_dual_fmamk_f32 v88, v100, 0x3dbcf732, v51 :: v_dual_mul_f32 v99, 0x3dbcf732, v10
	v_dual_mul_f32 v10, 0xbf59a7d5, v10 :: v_dual_add_f32 v47, v47, v48
	s_delay_alu instid0(VALU_DEP_3) | instskip(NEXT) | instid1(VALU_DEP_3)
	v_add_f32_e32 v48, v50, v94
	v_add_f32_e32 v50, v88, v96
	s_delay_alu instid0(VALU_DEP_4)
	v_fmamk_f32 v88, v19, 0x3f7ee86f, v99
	v_fma_f32 v51, 0x3dbcf732, v100, -v51
	v_fmac_f32_e32 v99, 0xbf7ee86f, v19
	v_add_f32_e32 v87, v87, v91
	v_mul_f32_e32 v91, 0xbf06c442, v97
	v_fmamk_f32 v94, v19, 0x3f06c442, v10
	v_add_f32_e32 v51, v51, v93
	v_add_f32_e32 v93, v99, v95
	v_sub_f32_e32 v95, v26, v8
	v_add_f32_e32 v8, v26, v8
	v_add_f32_e32 v88, v88, v92
	v_dual_fmamk_f32 v92, v100, 0xbf59a7d5, v91 :: v_dual_add_f32 v35, v94, v35
	v_add_f32_e32 v94, v28, v36
	v_mul_f32_e32 v26, 0xbf7ee86f, v95
	v_fma_f32 v91, 0xbf59a7d5, v100, -v91
	v_dual_fmac_f32 v10, 0xbf06c442, v19 :: v_dual_sub_f32 v19, v28, v36
	v_mul_f32_e32 v28, 0x3dbcf732, v8
	s_delay_alu instid0(VALU_DEP_4) | instskip(NEXT) | instid1(VALU_DEP_4)
	v_fmamk_f32 v36, v94, 0x3dbcf732, v26
	v_add_f32_e32 v14, v91, v14
	s_delay_alu instid0(VALU_DEP_4)
	v_add_f32_e32 v2, v10, v2
	v_mul_f32_e32 v10, 0xbe3c28d5, v95
	v_fmamk_f32 v91, v19, 0x3f7ee86f, v28
	v_add_f32_e32 v15, v36, v15
	v_fmac_f32_e32 v28, 0xbf7ee86f, v19
	v_fma_f32 v26, 0x3dbcf732, v94, -v26
	s_delay_alu instid0(VALU_DEP_4) | instskip(NEXT) | instid1(VALU_DEP_3)
	v_dual_fmamk_f32 v36, v94, 0xbf7ba420, v10 :: v_dual_add_f32 v11, v91, v11
	v_dual_mul_f32 v91, 0xbf7ba420, v8 :: v_dual_add_f32 v28, v28, v31
	v_fma_f32 v10, 0xbf7ba420, v94, -v10
	s_delay_alu instid0(VALU_DEP_3) | instskip(NEXT) | instid1(VALU_DEP_3)
	v_dual_add_f32 v27, v36, v27 :: v_dual_mul_f32 v36, 0xbe8c1d8e, v8
	v_fmamk_f32 v31, v19, 0x3e3c28d5, v91
	v_fmac_f32_e32 v91, 0xbe3c28d5, v19
	s_delay_alu instid0(VALU_DEP_4) | instskip(NEXT) | instid1(VALU_DEP_3)
	v_dual_add_f32 v3, v10, v3 :: v_dual_add_f32 v92, v92, v98
	v_add_f32_e32 v31, v31, v32
	s_delay_alu instid0(VALU_DEP_3) | instskip(SKIP_3) | instid1(VALU_DEP_3)
	v_add_f32_e32 v10, v91, v30
	v_fmamk_f32 v30, v19, 0xbf763a35, v36
	v_dual_add_f32 v26, v26, v29 :: v_dual_mul_f32 v29, 0x3f763a35, v95
	v_fmac_f32_e32 v36, 0x3f763a35, v19
	v_add_f32_e32 v30, v30, v40
	v_mul_f32_e32 v40, 0x3f6eb680, v8
	s_delay_alu instid0(VALU_DEP_4) | instskip(SKIP_2) | instid1(VALU_DEP_4)
	v_fmamk_f32 v96, v94, 0xbe8c1d8e, v29
	v_fma_f32 v29, 0xbe8c1d8e, v94, -v29
	v_add_f32_e32 v36, v36, v38
	v_fmamk_f32 v38, v19, 0xbeb8f4ab, v40
	s_delay_alu instid0(VALU_DEP_4) | instskip(NEXT) | instid1(VALU_DEP_4)
	v_add_f32_e32 v32, v96, v34
	v_dual_mul_f32 v34, 0x3eb8f4ab, v95 :: v_dual_add_f32 v29, v29, v37
	v_mul_f32_e32 v37, 0xbf65296c, v95
	v_fmac_f32_e32 v40, 0x3eb8f4ab, v19
	v_add_f32_e32 v38, v38, v41
	s_delay_alu instid0(VALU_DEP_4) | instskip(SKIP_2) | instid1(VALU_DEP_3)
	v_fmamk_f32 v91, v94, 0x3f6eb680, v34
	v_fma_f32 v34, 0x3f6eb680, v94, -v34
	v_mul_f32_e32 v41, 0x3ee437d1, v8
	v_add_f32_e32 v39, v91, v39
	v_fmamk_f32 v91, v94, 0x3ee437d1, v37
	s_delay_alu instid0(VALU_DEP_4) | instskip(SKIP_2) | instid1(VALU_DEP_4)
	v_dual_add_f32 v33, v34, v33 :: v_dual_add_f32 v34, v40, v44
	v_mul_f32_e32 v44, 0xbf06c442, v95
	v_fma_f32 v37, 0x3ee437d1, v94, -v37
	v_add_f32_e32 v40, v91, v45
	v_fmamk_f32 v45, v19, 0x3f65296c, v41
	s_delay_alu instid0(VALU_DEP_4) | instskip(NEXT) | instid1(VALU_DEP_4)
	v_dual_mul_f32 v91, 0xbf59a7d5, v8 :: v_dual_fmamk_f32 v96, v94, 0xbf59a7d5, v44
	v_add_f32_e32 v37, v37, v42
	v_fma_f32 v44, 0xbf59a7d5, v94, -v44
	s_delay_alu instid0(VALU_DEP_3)
	v_dual_add_f32 v45, v45, v46 :: v_dual_fmamk_f32 v42, v19, 0x3f06c442, v91
	v_mul_f32_e32 v46, 0x3f4c4adb, v95
	v_fmac_f32_e32 v91, 0xbf06c442, v19
	v_fmac_f32_e32 v41, 0xbf65296c, v19
	v_add_f32_e32 v44, v44, v47
	v_add_f32_e32 v42, v42, v87
	v_fmamk_f32 v87, v94, 0xbf1a4643, v46
	v_dual_add_f32 v47, v91, v48 :: v_dual_mul_f32 v48, 0x3f2c7751, v95
	v_add_f32_e32 v41, v41, v43
	v_add_f32_e32 v43, v96, v49
	s_delay_alu instid0(VALU_DEP_4) | instskip(SKIP_2) | instid1(VALU_DEP_3)
	v_dual_mul_f32 v49, 0xbf1a4643, v8 :: v_dual_add_f32 v50, v87, v50
	v_fma_f32 v46, 0xbf1a4643, v94, -v46
	v_dual_fmamk_f32 v87, v94, 0x3f3d2fb0, v48 :: v_dual_mul_f32 v8, 0x3f3d2fb0, v8
	v_fmamk_f32 v91, v19, 0xbf4c4adb, v49
	v_fmac_f32_e32 v49, 0x3f4c4adb, v19
	s_delay_alu instid0(VALU_DEP_3)
	v_dual_add_f32 v46, v46, v51 :: v_dual_add_f32 v51, v87, v92
	v_sub_f32_e32 v87, v23, v9
	v_add_f32_e32 v9, v23, v9
	v_add_f32_e32 v88, v91, v88
	v_fmamk_f32 v91, v19, 0xbf2c7751, v8
	v_fma_f32 v48, 0x3f3d2fb0, v94, -v48
	v_dual_add_f32 v23, v25, v13 :: v_dual_mul_f32 v92, 0xbf763a35, v87
	v_dual_fmac_f32 v8, 0x3f2c7751, v19 :: v_dual_sub_f32 v13, v25, v13
	v_mul_f32_e32 v19, 0xbe8c1d8e, v9
	v_add_f32_e32 v25, v91, v35
	s_delay_alu instid0(VALU_DEP_4) | instskip(NEXT) | instid1(VALU_DEP_4)
	v_dual_fmamk_f32 v35, v23, 0xbe8c1d8e, v92 :: v_dual_add_f32 v14, v48, v14
	v_add_f32_e32 v2, v8, v2
	s_delay_alu instid0(VALU_DEP_4) | instskip(SKIP_4) | instid1(VALU_DEP_4)
	v_fmamk_f32 v8, v13, 0x3f763a35, v19
	v_mul_f32_e32 v48, 0x3f06c442, v87
	v_fmac_f32_e32 v19, 0xbf763a35, v13
	v_add_f32_e32 v15, v35, v15
	v_fma_f32 v35, 0xbe8c1d8e, v23, -v92
	v_dual_add_f32 v8, v8, v11 :: v_dual_fmamk_f32 v11, v23, 0xbf59a7d5, v48
	v_mul_f32_e32 v91, 0xbf59a7d5, v9
	v_dual_add_f32 v19, v19, v28 :: v_dual_mul_f32 v28, 0x3f2c7751, v87
	s_delay_alu instid0(VALU_DEP_4) | instskip(NEXT) | instid1(VALU_DEP_4)
	v_add_f32_e32 v26, v35, v26
	v_add_f32_e32 v11, v11, v27
	s_delay_alu instid0(VALU_DEP_4)
	v_fmamk_f32 v27, v13, 0xbf06c442, v91
	v_fma_f32 v35, 0xbf59a7d5, v23, -v48
	v_fmamk_f32 v48, v23, 0x3f3d2fb0, v28
	v_mul_f32_e32 v92, 0x3f3d2fb0, v9
	v_fmac_f32_e32 v91, 0x3f06c442, v13
	v_add_f32_e32 v27, v27, v31
	v_add_f32_e32 v3, v35, v3
	s_delay_alu instid0(VALU_DEP_4)
	v_dual_add_f32 v31, v48, v32 :: v_dual_fmamk_f32 v32, v13, 0xbf2c7751, v92
	v_mul_f32_e32 v35, 0xbf65296c, v87
	v_fma_f32 v28, 0x3f3d2fb0, v23, -v28
	v_fmac_f32_e32 v92, 0x3f2c7751, v13
	v_mul_f32_e32 v48, 0x3ee437d1, v9
	v_add_f32_e32 v10, v91, v10
	v_add_f32_e32 v30, v32, v30
	v_fmamk_f32 v32, v23, 0x3ee437d1, v35
	v_add_f32_e32 v28, v28, v29
	v_dual_add_f32 v29, v92, v36 :: v_dual_fmamk_f32 v36, v13, 0x3f65296c, v48
	v_mul_f32_e32 v91, 0xbe3c28d5, v87
	v_fma_f32 v35, 0x3ee437d1, v23, -v35
	v_add_f32_e32 v32, v32, v39
	v_fmac_f32_e32 v48, 0xbf65296c, v13
	v_add_f32_e32 v36, v36, v38
	v_dual_fmamk_f32 v38, v23, 0xbf7ba420, v91 :: v_dual_mul_f32 v39, 0xbf7ba420, v9
	v_add_f32_e32 v33, v35, v33
	s_delay_alu instid0(VALU_DEP_4) | instskip(NEXT) | instid1(VALU_DEP_3)
	v_dual_mul_f32 v35, 0x3f7ee86f, v87 :: v_dual_add_f32 v34, v48, v34
	v_add_f32_e32 v38, v38, v40
	s_delay_alu instid0(VALU_DEP_4) | instskip(SKIP_3) | instid1(VALU_DEP_4)
	v_fmamk_f32 v40, v13, 0x3e3c28d5, v39
	v_fma_f32 v48, 0xbf7ba420, v23, -v91
	v_fmac_f32_e32 v39, 0xbe3c28d5, v13
	v_dual_fmamk_f32 v91, v23, 0x3dbcf732, v35 :: v_dual_mul_f32 v92, 0x3dbcf732, v9
	v_dual_add_f32 v40, v40, v45 :: v_dual_mul_f32 v45, 0xbeb8f4ab, v87
	s_delay_alu instid0(VALU_DEP_3) | instskip(NEXT) | instid1(VALU_DEP_3)
	v_add_f32_e32 v39, v39, v41
	v_add_f32_e32 v41, v91, v43
	s_delay_alu instid0(VALU_DEP_4) | instskip(SKIP_3) | instid1(VALU_DEP_4)
	v_fmamk_f32 v43, v13, 0xbf7ee86f, v92
	v_add_f32_e32 v37, v48, v37
	v_fma_f32 v35, 0x3dbcf732, v23, -v35
	v_mul_f32_e32 v48, 0x3f6eb680, v9
	v_dual_mul_f32 v87, 0xbf4c4adb, v87 :: v_dual_add_f32 v42, v43, v42
	v_fmamk_f32 v43, v23, 0x3f6eb680, v45
	v_fma_f32 v45, 0x3f6eb680, v23, -v45
	s_delay_alu instid0(VALU_DEP_4) | instskip(NEXT) | instid1(VALU_DEP_3)
	v_dual_add_f32 v35, v35, v44 :: v_dual_fmamk_f32 v44, v13, 0x3eb8f4ab, v48
	v_dual_fmac_f32 v48, 0xbeb8f4ab, v13 :: v_dual_add_f32 v43, v43, v50
	s_delay_alu instid0(VALU_DEP_3) | instskip(SKIP_1) | instid1(VALU_DEP_4)
	v_dual_fmamk_f32 v50, v23, 0xbf1a4643, v87 :: v_dual_add_f32 v45, v45, v46
	v_dual_sub_f32 v46, v22, v12 :: v_dual_add_f32 v49, v49, v93
	v_dual_add_f32 v44, v44, v88 :: v_dual_mul_f32 v9, 0xbf1a4643, v9
	v_add_f32_e32 v12, v22, v12
	s_delay_alu instid0(VALU_DEP_3) | instskip(NEXT) | instid1(VALU_DEP_4)
	v_mul_f32_e32 v88, 0xbf4c4adb, v46
	v_dual_add_f32 v48, v48, v49 :: v_dual_add_f32 v49, v50, v51
	v_dual_add_f32 v51, v24, v18 :: v_dual_fmac_f32 v92, 0x3f7ee86f, v13
	v_fmamk_f32 v50, v13, 0x3f4c4adb, v9
	v_fma_f32 v22, 0xbf1a4643, v23, -v87
	v_fmac_f32_e32 v9, 0xbf4c4adb, v13
	s_delay_alu instid0(VALU_DEP_4) | instskip(NEXT) | instid1(VALU_DEP_4)
	v_dual_sub_f32 v13, v24, v18 :: v_dual_fmamk_f32 v18, v51, 0xbf1a4643, v88
	v_dual_mul_f32 v23, 0xbf1a4643, v12 :: v_dual_add_f32 v24, v50, v25
	s_delay_alu instid0(VALU_DEP_3) | instskip(SKIP_1) | instid1(VALU_DEP_4)
	v_add_f32_e32 v2, v9, v2
	v_add_f32_e32 v14, v22, v14
	;; [unrolled: 1-line block ×3, first 2 shown]
	s_delay_alu instid0(VALU_DEP_4)
	v_fmamk_f32 v15, v13, 0x3f4c4adb, v23
	v_mul_f32_e32 v18, 0x3f763a35, v46
	v_fma_f32 v22, 0xbf1a4643, v51, -v88
	v_fmac_f32_e32 v23, 0xbf4c4adb, v13
	v_mul_f32_e32 v25, 0xbe8c1d8e, v12
	v_add_f32_e32 v8, v15, v8
	s_delay_alu instid0(VALU_DEP_4) | instskip(NEXT) | instid1(VALU_DEP_4)
	v_dual_fmamk_f32 v15, v51, 0xbe8c1d8e, v18 :: v_dual_add_f32 v22, v22, v26
	v_add_f32_e32 v19, v23, v19
	s_delay_alu instid0(VALU_DEP_4) | instskip(NEXT) | instid1(VALU_DEP_3)
	v_fmamk_f32 v23, v13, 0xbf763a35, v25
	v_dual_mul_f32 v26, 0xbeb8f4ab, v46 :: v_dual_add_f32 v11, v15, v11
	v_fma_f32 v15, 0xbe8c1d8e, v51, -v18
	s_delay_alu instid0(VALU_DEP_3) | instskip(NEXT) | instid1(VALU_DEP_3)
	v_dual_fmac_f32 v25, 0x3f763a35, v13 :: v_dual_add_f32 v18, v23, v27
	v_fmamk_f32 v23, v51, 0x3f6eb680, v26
	v_mul_f32_e32 v27, 0x3f6eb680, v12
	s_delay_alu instid0(VALU_DEP_4) | instskip(SKIP_1) | instid1(VALU_DEP_4)
	v_add_f32_e32 v3, v15, v3
	v_mul_f32_e32 v15, 0xbf06c442, v46
	v_dual_add_f32 v10, v25, v10 :: v_dual_add_f32 v23, v23, v31
	s_delay_alu instid0(VALU_DEP_4) | instskip(SKIP_4) | instid1(VALU_DEP_3)
	v_fmamk_f32 v25, v13, 0x3eb8f4ab, v27
	v_fma_f32 v26, 0x3f6eb680, v51, -v26
	v_fmac_f32_e32 v27, 0xbeb8f4ab, v13
	v_dual_fmamk_f32 v31, v51, 0xbf59a7d5, v15 :: v_dual_mul_f32 v50, 0xbf59a7d5, v12
	v_fma_f32 v15, 0xbf59a7d5, v51, -v15
	v_dual_add_f32 v26, v26, v28 :: v_dual_add_f32 v27, v27, v29
	s_delay_alu instid0(VALU_DEP_3) | instskip(SKIP_4) | instid1(VALU_DEP_3)
	v_dual_add_f32 v28, v31, v32 :: v_dual_fmamk_f32 v29, v13, 0x3f06c442, v50
	v_fmac_f32_e32 v50, 0xbf06c442, v13
	v_mul_f32_e32 v31, 0x3dbcf732, v12
	v_add_f32_e32 v25, v25, v30
	v_dual_mul_f32 v30, 0x3f7ee86f, v46 :: v_dual_add_f32 v15, v15, v33
	v_dual_add_f32 v33, v50, v34 :: v_dual_fmamk_f32 v34, v13, 0xbf7ee86f, v31
	s_delay_alu instid0(VALU_DEP_2) | instskip(SKIP_2) | instid1(VALU_DEP_4)
	v_dual_add_f32 v29, v29, v36 :: v_dual_fmamk_f32 v32, v51, 0x3dbcf732, v30
	v_mul_f32_e32 v36, 0xbf2c7751, v46
	v_fma_f32 v30, 0x3dbcf732, v51, -v30
	v_dual_fmac_f32 v31, 0x3f7ee86f, v13 :: v_dual_add_f32 v34, v34, v40
	v_mul_f32_e32 v40, 0x3f3d2fb0, v12
	v_add_f32_e32 v32, v32, v38
	v_fmamk_f32 v38, v51, 0x3f3d2fb0, v36
	s_delay_alu instid0(VALU_DEP_4) | instskip(SKIP_1) | instid1(VALU_DEP_3)
	v_dual_add_f32 v30, v30, v37 :: v_dual_add_f32 v31, v31, v39
	v_mul_f32_e32 v37, 0xbe3c28d5, v46
	v_dual_fmamk_f32 v39, v13, 0x3f2c7751, v40 :: v_dual_add_f32 v38, v38, v41
	v_fma_f32 v36, 0x3f3d2fb0, v51, -v36
	v_fmac_f32_e32 v40, 0xbf2c7751, v13
	s_delay_alu instid0(VALU_DEP_4) | instskip(NEXT) | instid1(VALU_DEP_4)
	v_dual_fmamk_f32 v41, v51, 0xbf7ba420, v37 :: v_dual_mul_f32 v50, 0xbf7ba420, v12
	v_add_f32_e32 v39, v39, v42
	v_mul_f32_e32 v42, 0x3f65296c, v46
	v_sub_f32_e32 v46, v21, v16
	v_dual_add_f32 v16, v21, v16 :: v_dual_add_f32 v47, v92, v47
	v_dual_add_f32 v35, v36, v35 :: v_dual_mul_f32 v12, 0x3ee437d1, v12
	s_delay_alu instid0(VALU_DEP_2)
	v_dual_mul_f32 v21, 0xbf06c442, v46 :: v_dual_add_f32 v36, v40, v47
	v_add_f32_e32 v40, v41, v43
	v_fmamk_f32 v41, v13, 0x3e3c28d5, v50
	v_fmac_f32_e32 v50, 0xbe3c28d5, v13
	v_fmamk_f32 v43, v51, 0x3ee437d1, v42
	v_fma_f32 v42, 0x3ee437d1, v51, -v42
	s_delay_alu instid0(VALU_DEP_4) | instskip(SKIP_2) | instid1(VALU_DEP_4)
	v_add_f32_e32 v41, v41, v44
	v_fmamk_f32 v44, v13, 0xbf65296c, v12
	v_fmac_f32_e32 v12, 0x3f65296c, v13
	v_dual_sub_f32 v13, v20, v17 :: v_dual_add_f32 v14, v42, v14
	s_delay_alu instid0(VALU_DEP_3) | instskip(SKIP_1) | instid1(VALU_DEP_4)
	v_add_f32_e32 v24, v44, v24
	v_dual_add_f32 v44, v20, v17 :: v_dual_mul_f32 v17, 0xbf59a7d5, v16
	v_add_f32_e32 v2, v12, v2
	v_mul_f32_e32 v12, 0x3f65296c, v46
	s_delay_alu instid0(VALU_DEP_3) | instskip(NEXT) | instid1(VALU_DEP_4)
	v_fmamk_f32 v20, v44, 0xbf59a7d5, v21
	v_fmamk_f32 v42, v13, 0x3f06c442, v17
	v_fmac_f32_e32 v17, 0xbf06c442, v13
	s_delay_alu instid0(VALU_DEP_3) | instskip(SKIP_1) | instid1(VALU_DEP_4)
	v_add_f32_e32 v9, v20, v9
	v_fma_f32 v20, 0xbf59a7d5, v44, -v21
	v_dual_fmamk_f32 v21, v44, 0x3ee437d1, v12 :: v_dual_add_f32 v8, v42, v8
	s_delay_alu instid0(VALU_DEP_4) | instskip(NEXT) | instid1(VALU_DEP_3)
	v_dual_mul_f32 v42, 0x3ee437d1, v16 :: v_dual_add_f32 v17, v17, v19
	v_add_f32_e32 v20, v20, v22
	v_mul_f32_e32 v19, 0xbf7ee86f, v46
	v_fma_f32 v12, 0x3ee437d1, v44, -v12
	v_dual_mul_f32 v22, 0x3dbcf732, v16 :: v_dual_add_f32 v11, v21, v11
	v_fmamk_f32 v21, v13, 0xbf65296c, v42
	s_delay_alu instid0(VALU_DEP_4) | instskip(NEXT) | instid1(VALU_DEP_3)
	v_fmamk_f32 v47, v44, 0x3dbcf732, v19
	v_dual_add_f32 v12, v12, v3 :: v_dual_fmamk_f32 v3, v13, 0x3f7ee86f, v22
	v_fmac_f32_e32 v42, 0x3f65296c, v13
	s_delay_alu instid0(VALU_DEP_3)
	v_dual_add_f32 v18, v21, v18 :: v_dual_add_f32 v21, v47, v23
	v_mul_f32_e32 v23, 0x3f4c4adb, v46
	v_fma_f32 v19, 0x3dbcf732, v44, -v19
	v_fmac_f32_e32 v22, 0xbf7ee86f, v13
	v_add_f32_e32 v25, v3, v25
	v_dual_mul_f32 v3, 0xbf1a4643, v16 :: v_dual_add_f32 v10, v42, v10
	s_delay_alu instid0(VALU_DEP_4) | instskip(NEXT) | instid1(VALU_DEP_4)
	v_dual_fmamk_f32 v42, v44, 0xbf1a4643, v23 :: v_dual_add_f32 v19, v19, v26
	v_add_f32_e32 v22, v22, v27
	v_mul_f32_e32 v26, 0xbeb8f4ab, v46
	s_delay_alu instid0(VALU_DEP_3) | instskip(SKIP_2) | instid1(VALU_DEP_3)
	v_dual_fmamk_f32 v27, v13, 0xbf4c4adb, v3 :: v_dual_add_f32 v28, v42, v28
	v_fma_f32 v23, 0xbf1a4643, v44, -v23
	v_fmac_f32_e32 v3, 0x3f4c4adb, v13
	v_dual_fmamk_f32 v42, v44, 0x3f6eb680, v26 :: v_dual_add_f32 v27, v27, v29
	v_mul_f32_e32 v29, 0x3f6eb680, v16
	s_delay_alu instid0(VALU_DEP_4) | instskip(NEXT) | instid1(VALU_DEP_3)
	v_add_f32_e32 v23, v23, v15
	v_dual_add_f32 v33, v3, v33 :: v_dual_add_f32 v32, v42, v32
	v_mul_f32_e32 v3, 0xbe3c28d5, v46
	s_delay_alu instid0(VALU_DEP_4) | instskip(SKIP_3) | instid1(VALU_DEP_4)
	v_fmamk_f32 v15, v13, 0x3eb8f4ab, v29
	v_mul_f32_e32 v42, 0xbf7ba420, v16
	v_fma_f32 v26, 0x3f6eb680, v44, -v26
	v_fmac_f32_e32 v29, 0xbeb8f4ab, v13
	v_dual_fmamk_f32 v47, v44, 0xbf7ba420, v3 :: v_dual_add_f32 v34, v15, v34
	s_delay_alu instid0(VALU_DEP_3) | instskip(NEXT) | instid1(VALU_DEP_2)
	v_dual_fmamk_f32 v15, v13, 0x3e3c28d5, v42 :: v_dual_add_f32 v26, v26, v30
	v_dual_add_f32 v29, v29, v31 :: v_dual_add_f32 v30, v47, v38
	v_mul_f32_e32 v31, 0x3f2c7751, v46
	v_fma_f32 v3, 0xbf7ba420, v44, -v3
	v_fmac_f32_e32 v42, 0xbe3c28d5, v13
	v_dual_add_f32 v38, v15, v39 :: v_dual_mul_f32 v15, 0x3f3d2fb0, v16
	s_delay_alu instid0(VALU_DEP_4) | instskip(NEXT) | instid1(VALU_DEP_3)
	v_fmamk_f32 v39, v44, 0x3f3d2fb0, v31
	v_dual_add_f32 v35, v3, v35 :: v_dual_add_f32 v36, v42, v36
	v_mul_f32_e32 v3, 0xbf763a35, v46
	s_delay_alu instid0(VALU_DEP_4) | instskip(SKIP_2) | instid1(VALU_DEP_4)
	v_fmamk_f32 v42, v13, 0xbf2c7751, v15
	v_fma_f32 v37, 0xbf7ba420, v51, -v37
	v_add_f32_e32 v43, v43, v49
	v_dual_add_f32 v39, v39, v40 :: v_dual_fmamk_f32 v40, v44, 0xbe8c1d8e, v3
	s_delay_alu instid0(VALU_DEP_4) | instskip(NEXT) | instid1(VALU_DEP_4)
	v_add_f32_e32 v41, v42, v41
	v_dual_sub_f32 v42, v6, v7 :: v_dual_add_f32 v37, v37, v45
	v_fma_f32 v31, 0x3f3d2fb0, v44, -v31
	v_fmac_f32_e32 v15, 0x3f2c7751, v13
	v_mul_f32_e32 v16, 0xbe8c1d8e, v16
	v_add_f32_e32 v40, v40, v43
	v_fma_f32 v3, 0xbe8c1d8e, v44, -v3
	v_dual_add_f32 v43, v6, v7 :: v_dual_add_f32 v44, v4, v5
	v_dual_add_f32 v45, v50, v48 :: v_dual_mul_f32 v6, 0xbe3c28d5, v42
	v_add_f32_e32 v31, v31, v37
	v_mul_f32_e32 v7, 0x3eb8f4ab, v42
	v_add_f32_e32 v47, v3, v14
	s_delay_alu instid0(VALU_DEP_4)
	v_add_f32_e32 v37, v15, v45
	v_fmamk_f32 v15, v13, 0x3f763a35, v16
	v_fmac_f32_e32 v16, 0xbf763a35, v13
	v_sub_f32_e32 v45, v4, v5
	v_dual_mul_f32 v5, 0xbf7ba420, v43 :: v_dual_fmamk_f32 v4, v44, 0xbf7ba420, v6
	v_mul_f32_e32 v13, 0xbf06c442, v42
	s_delay_alu instid0(VALU_DEP_4) | instskip(SKIP_1) | instid1(VALU_DEP_4)
	v_add_f32_e32 v48, v16, v2
	v_mul_f32_e32 v16, 0x3f2c7751, v42
	v_dual_fmamk_f32 v3, v45, 0x3e3c28d5, v5 :: v_dual_add_f32 v2, v4, v9
	v_fma_f32 v4, 0xbf7ba420, v44, -v6
	v_dual_fmamk_f32 v6, v44, 0x3f6eb680, v7 :: v_dual_mul_f32 v9, 0x3f6eb680, v43
	s_delay_alu instid0(VALU_DEP_3) | instskip(SKIP_1) | instid1(VALU_DEP_3)
	v_dual_add_f32 v3, v3, v8 :: v_dual_fmamk_f32 v14, v44, 0xbf59a7d5, v13
	v_add_f32_e32 v46, v15, v24
	v_add_f32_e32 v6, v6, v11
	s_delay_alu instid0(VALU_DEP_4) | instskip(SKIP_4) | instid1(VALU_DEP_4)
	v_fmamk_f32 v8, v45, 0xbeb8f4ab, v9
	v_fma_f32 v11, 0x3f6eb680, v44, -v7
	v_fmac_f32_e32 v9, 0x3eb8f4ab, v45
	v_mul_f32_e32 v15, 0xbf59a7d5, v43
	v_fmac_f32_e32 v5, 0xbe3c28d5, v45
	v_dual_add_f32 v7, v8, v18 :: v_dual_add_f32 v8, v11, v12
	v_fma_f32 v12, 0xbf59a7d5, v44, -v13
	v_dual_add_f32 v9, v9, v10 :: v_dual_add_f32 v10, v14, v21
	v_fmamk_f32 v14, v44, 0x3f3d2fb0, v16
	v_fma_f32 v16, 0x3f3d2fb0, v44, -v16
	v_fmamk_f32 v11, v45, 0x3f06c442, v15
	v_dual_fmac_f32 v15, 0xbf06c442, v45 :: v_dual_add_f32 v12, v12, v19
	v_mul_f32_e32 v19, 0xbf4c4adb, v42
	v_mul_f32_e32 v21, 0xbf1a4643, v43
	v_add_f32_e32 v5, v5, v17
	v_mul_f32_e32 v17, 0x3f3d2fb0, v43
	v_dual_add_f32 v16, v16, v23 :: v_dual_mul_f32 v23, 0x3f65296c, v42
	v_dual_add_f32 v4, v4, v20 :: v_dual_add_f32 v13, v15, v22
	v_fmamk_f32 v20, v45, 0x3f4c4adb, v21
	v_fma_f32 v22, 0xbf1a4643, v44, -v19
	v_add_f32_e32 v11, v11, v25
	v_fmamk_f32 v15, v45, 0xbf2c7751, v17
	v_fmac_f32_e32 v21, 0xbf4c4adb, v45
	v_dual_fmamk_f32 v24, v44, 0x3ee437d1, v23 :: v_dual_mul_f32 v25, 0x3ee437d1, v43
	v_fmac_f32_e32 v17, 0x3f2c7751, v45
	v_fmamk_f32 v18, v44, 0xbf1a4643, v19
	v_add_f32_e32 v19, v20, v34
	v_add_f32_e32 v20, v22, v26
	v_dual_mul_f32 v26, 0xbf763a35, v42 :: v_dual_add_f32 v15, v15, v27
	v_dual_add_f32 v21, v21, v29 :: v_dual_add_f32 v22, v24, v30
	v_fmamk_f32 v24, v45, 0xbf65296c, v25
	v_fma_f32 v27, 0x3ee437d1, v44, -v23
	v_dual_mul_f32 v29, 0xbe8c1d8e, v43 :: v_dual_add_f32 v14, v14, v28
	v_dual_add_f32 v17, v17, v33 :: v_dual_add_f32 v18, v18, v32
	v_fmamk_f32 v28, v44, 0xbe8c1d8e, v26
	v_fma_f32 v30, 0xbe8c1d8e, v44, -v26
	v_mul_f32_e32 v32, 0x3f7ee86f, v42
	v_mul_f32_e32 v33, 0x3dbcf732, v43
	v_dual_add_f32 v23, v24, v38 :: v_dual_add_f32 v24, v27, v35
	v_dual_fmamk_f32 v27, v45, 0x3f763a35, v29 :: v_dual_add_f32 v26, v28, v39
	v_add_f32_e32 v28, v30, v31
	v_fmamk_f32 v30, v44, 0x3dbcf732, v32
	v_fmamk_f32 v31, v45, 0xbf7ee86f, v33
	v_fma_f32 v32, 0x3dbcf732, v44, -v32
	v_fmac_f32_e32 v33, 0x3f7ee86f, v45
	v_fmac_f32_e32 v25, 0x3f65296c, v45
	v_fmac_f32_e32 v29, 0xbf763a35, v45
	v_dual_add_f32 v27, v27, v41 :: v_dual_add_f32 v30, v30, v40
	v_dual_add_f32 v31, v31, v46 :: v_dual_add_f32 v32, v32, v47
	v_add_f32_e32 v33, v33, v48
	v_add_f32_e32 v25, v25, v36
	;; [unrolled: 1-line block ×3, first 2 shown]
	ds_store_2addr_b64 v90, v[0:1], v[2:3] offset1:17
	ds_store_2addr_b64 v90, v[6:7], v[10:11] offset0:34 offset1:51
	ds_store_2addr_b64 v90, v[14:15], v[18:19] offset0:68 offset1:85
	;; [unrolled: 1-line block ×7, first 2 shown]
	ds_store_b64 v90, v[4:5] offset:2176
	global_wb scope:SCOPE_SE
	s_wait_dscnt 0x0
	s_barrier_signal -1
	s_barrier_wait -1
	global_inv scope:SCOPE_SE
	ds_load_2addr_b64 v[0:3], v90 offset1:17
	v_mad_co_u64_u32 v[24:25], null, s6, v62, 0
	v_mad_co_u64_u32 v[26:27], null, s4, v89, 0
	s_delay_alu instid0(VALU_DEP_1) | instskip(NEXT) | instid1(VALU_DEP_1)
	v_mad_co_u64_u32 v[28:29], null, s7, v62, v[25:26]
	v_mov_b32_e32 v25, v28
	s_wait_dscnt 0x0
	v_mul_f32_e32 v4, v84, v1
	v_dual_mul_f32 v5, v84, v0 :: v_dual_mul_f32 v6, v86, v3
	s_delay_alu instid0(VALU_DEP_2) | instskip(NEXT) | instid1(VALU_DEP_2)
	v_fmac_f32_e32 v4, v83, v0
	v_fma_f32 v0, v83, v1, -v5
	v_mul_f32_e32 v1, v86, v2
	s_delay_alu instid0(VALU_DEP_4) | instskip(NEXT) | instid1(VALU_DEP_4)
	v_fmac_f32_e32 v6, v85, v2
	v_cvt_f64_f32_e32 v[8:9], v4
	s_delay_alu instid0(VALU_DEP_4) | instskip(NEXT) | instid1(VALU_DEP_4)
	v_cvt_f64_f32_e32 v[10:11], v0
	v_fma_f32 v0, v85, v3, -v1
	s_delay_alu instid0(VALU_DEP_4) | instskip(NEXT) | instid1(VALU_DEP_2)
	v_cvt_f64_f32_e32 v[12:13], v6
	v_cvt_f64_f32_e32 v[14:15], v0
	ds_load_2addr_b64 v[0:3], v90 offset0:34 offset1:51
	ds_load_2addr_b64 v[4:7], v90 offset0:68 offset1:85
	s_wait_dscnt 0x1
	v_mul_f32_e32 v16, v78, v1
	v_mul_f32_e32 v17, v78, v0
	;; [unrolled: 1-line block ×3, first 2 shown]
	s_wait_dscnt 0x0
	v_dual_mul_f32 v19, v82, v2 :: v_dual_mul_f32 v20, v76, v5
	v_fmac_f32_e32 v16, v77, v0
	v_fma_f32 v17, v77, v1, -v17
	v_mul_f32_e32 v21, v76, v4
	v_mul_f32_e32 v22, v80, v7
	;; [unrolled: 1-line block ×3, first 2 shown]
	v_fmac_f32_e32 v18, v81, v2
	s_wait_alu 0xfffe
	v_mul_f64_e32 v[8:9], s[2:3], v[8:9]
	v_mul_f64_e32 v[10:11], s[2:3], v[10:11]
	v_fma_f32 v19, v81, v3, -v19
	v_mul_f64_e32 v[12:13], s[2:3], v[12:13]
	v_fmac_f32_e32 v20, v75, v4
	v_fma_f32 v21, v75, v5, -v21
	v_fmac_f32_e32 v22, v79, v6
	v_mul_f64_e32 v[0:1], s[2:3], v[14:15]
	v_fma_f32 v23, v79, v7, -v23
	v_cvt_f64_f32_e32 v[14:15], v16
	v_cvt_f64_f32_e32 v[16:17], v17
	;; [unrolled: 1-line block ×8, first 2 shown]
	v_cvt_f32_f64_e32 v8, v[8:9]
	v_cvt_f32_f64_e32 v9, v[10:11]
	v_mad_co_u64_u32 v[10:11], null, s5, v89, v[27:28]
	v_cvt_f32_f64_e32 v11, v[12:13]
	v_cvt_f32_f64_e32 v12, v[0:1]
	v_lshlrev_b64_e32 v[0:1], 3, v[24:25]
	v_mul_f64_e32 v[13:14], s[2:3], v[14:15]
	v_mov_b32_e32 v27, v10
	v_mul_f64_e32 v[15:16], s[2:3], v[16:17]
	v_mul_f64_e32 v[28:29], s[2:3], v[2:3]
	;; [unrolled: 1-line block ×3, first 2 shown]
	v_add_co_u32 v0, vcc_lo, s0, v0
	v_lshlrev_b64_e32 v[2:3], 3, v[26:27]
	s_wait_alu 0xfffd
	v_add_co_ci_u32_e32 v1, vcc_lo, s1, v1, vcc_lo
	v_mul_f64_e32 v[19:20], s[2:3], v[20:21]
	v_mul_f64_e32 v[21:22], s[2:3], v[22:23]
	;; [unrolled: 1-line block ×3, first 2 shown]
	v_add_co_u32 v4, vcc_lo, v0, v2
	s_wait_alu 0xfffd
	v_add_co_ci_u32_e32 v5, vcc_lo, v1, v3, vcc_lo
	ds_load_2addr_b64 v[0:3], v90 offset0:102 offset1:119
	v_mul_f64_e32 v[30:31], s[2:3], v[6:7]
	s_mul_u64 s[0:1], s[4:5], 0x88
	s_wait_alu 0xfffe
	v_add_co_u32 v26, vcc_lo, v4, s0
	s_wait_alu 0xfffd
	v_add_co_ci_u32_e32 v27, vcc_lo, s1, v5, vcc_lo
	s_clause 0x1
	global_store_b64 v[4:5], v[8:9], off
	global_store_b64 v[26:27], v[11:12], off
	ds_load_2addr_b64 v[4:7], v90 offset0:136 offset1:153
	s_wait_dscnt 0x1
	v_mul_f32_e32 v12, v74, v1
	v_mul_f32_e32 v8, v74, v0
	v_cvt_f32_f64_e32 v32, v[13:14]
	v_cvt_f32_f64_e32 v33, v[15:16]
	;; [unrolled: 1-line block ×3, first 2 shown]
	v_fmac_f32_e32 v12, v73, v0
	v_fma_f32 v0, v73, v1, -v8
	v_mul_f32_e32 v1, v66, v3
	ds_load_2addr_b64 v[8:11], v90 offset0:170 offset1:187
	v_cvt_f32_f64_e32 v17, v[17:18]
	ds_load_b64 v[42:43], v90 offset:2176
	v_cvt_f64_f32_e32 v[28:29], v0
	v_mul_f32_e32 v0, v66, v2
	v_cvt_f32_f64_e32 v18, v[19:20]
	v_cvt_f32_f64_e32 v19, v[21:22]
	v_cvt_f64_f32_e32 v[20:21], v12
	v_fmac_f32_e32 v1, v65, v2
	v_fma_f32 v0, v65, v3, -v0
	v_cvt_f32_f64_e32 v23, v[24:25]
	s_wait_dscnt 0x2
	v_mul_f32_e32 v12, v70, v5
	v_dual_mul_f32 v2, v70, v4 :: v_dual_mul_f32 v13, v55, v7
	v_cvt_f32_f64_e32 v24, v[30:31]
	v_cvt_f64_f32_e32 v[30:31], v1
	s_delay_alu instid0(VALU_DEP_4) | instskip(NEXT) | instid1(VALU_DEP_4)
	v_fmac_f32_e32 v12, v69, v4
	v_fma_f32 v14, v69, v5, -v2
	v_fmac_f32_e32 v13, v54, v6
	v_cvt_f64_f32_e32 v[4:5], v0
	ds_load_2addr_b64 v[0:3], v90 offset0:204 offset1:221
	v_cvt_f64_f32_e32 v[34:35], v12
	v_cvt_f64_f32_e32 v[36:37], v14
	;; [unrolled: 1-line block ×3, first 2 shown]
	ds_load_2addr_b64 v[12:15], v90 offset0:238 offset1:255
	s_wait_dscnt 0x3
	v_mul_f32_e32 v22, v61, v9
	v_dual_mul_f32 v25, v61, v8 :: v_dual_mul_f32 v6, v55, v6
	v_mul_f32_e32 v40, v64, v11
	v_mul_f32_e32 v41, v64, v10
	s_delay_alu instid0(VALU_DEP_4) | instskip(NEXT) | instid1(VALU_DEP_4)
	v_fmac_f32_e32 v22, v60, v8
	v_fma_f32 v25, v60, v9, -v25
	v_fma_f32 v6, v54, v7, -v6
	v_fmac_f32_e32 v40, v63, v10
	v_fma_f32 v44, v63, v11, -v41
	v_cvt_f64_f32_e32 v[8:9], v22
	v_cvt_f64_f32_e32 v[10:11], v25
	;; [unrolled: 1-line block ×5, first 2 shown]
	s_wait_dscnt 0x1
	v_mul_f32_e32 v22, v53, v1
	v_mul_f32_e32 v25, v53, v0
	;; [unrolled: 1-line block ×3, first 2 shown]
	s_wait_dscnt 0x0
	v_dual_mul_f32 v47, v57, v2 :: v_dual_mul_f32 v50, v59, v13
	v_fmac_f32_e32 v22, v52, v0
	v_fma_f32 v25, v52, v1, -v25
	v_fmac_f32_e32 v46, v56, v2
	s_delay_alu instid0(VALU_DEP_4)
	v_fma_f32 v48, v56, v3, -v47
	v_fmac_f32_e32 v50, v58, v12
	v_mul_f32_e32 v12, v59, v12
	v_cvt_f64_f32_e32 v[0:1], v22
	v_cvt_f64_f32_e32 v[2:3], v25
	v_mul_f32_e32 v22, v68, v15
	v_mul_f32_e32 v25, v68, v14
	;; [unrolled: 1-line block ×4, first 2 shown]
	v_fma_f32 v12, v58, v13, -v12
	v_fmac_f32_e32 v22, v67, v14
	v_fma_f32 v25, v67, v15, -v25
	v_fmac_f32_e32 v52, v71, v42
	v_fma_f32 v54, v71, v43, -v53
	v_cvt_f64_f32_e32 v[46:47], v46
	v_cvt_f64_f32_e32 v[48:49], v48
	;; [unrolled: 1-line block ×8, first 2 shown]
	v_mul_f64_e32 v[20:21], s[2:3], v[20:21]
	v_mul_f64_e32 v[28:29], s[2:3], v[28:29]
	;; [unrolled: 1-line block ×4, first 2 shown]
	v_add_co_u32 v26, vcc_lo, v26, s0
	s_wait_alu 0xfffd
	v_add_co_ci_u32_e32 v27, vcc_lo, s1, v27, vcc_lo
	v_mul_f64_e32 v[34:35], s[2:3], v[34:35]
	s_delay_alu instid0(VALU_DEP_3) | instskip(SKIP_1) | instid1(VALU_DEP_3)
	v_add_co_u32 v56, vcc_lo, v26, s0
	s_wait_alu 0xfffd
	v_add_co_ci_u32_e32 v57, vcc_lo, s1, v27, vcc_lo
	v_mul_f64_e32 v[36:37], s[2:3], v[36:37]
	v_mul_f64_e32 v[38:39], s[2:3], v[38:39]
	;; [unrolled: 1-line block ×3, first 2 shown]
	v_add_co_u32 v58, vcc_lo, v56, s0
	s_wait_alu 0xfffd
	v_add_co_ci_u32_e32 v59, vcc_lo, s1, v57, vcc_lo
	v_mul_f64_e32 v[8:9], s[2:3], v[8:9]
	v_mul_f64_e32 v[10:11], s[2:3], v[10:11]
	v_add_co_u32 v60, vcc_lo, v58, s0
	s_wait_alu 0xfffd
	v_add_co_ci_u32_e32 v61, vcc_lo, s1, v59, vcc_lo
	s_clause 0x2
	global_store_b64 v[26:27], v[32:33], off
	global_store_b64 v[56:57], v[16:17], off
	;; [unrolled: 1-line block ×4, first 2 shown]
	v_mul_f64_e32 v[16:17], s[2:3], v[40:41]
	v_mul_f64_e32 v[18:19], s[2:3], v[44:45]
	;; [unrolled: 1-line block ×12, first 2 shown]
	v_cvt_f32_f64_e32 v20, v[20:21]
	v_cvt_f32_f64_e32 v21, v[28:29]
	;; [unrolled: 1-line block ×4, first 2 shown]
	v_add_co_u32 v28, vcc_lo, v60, s0
	s_wait_alu 0xfffd
	v_add_co_ci_u32_e32 v29, vcc_lo, s1, v61, vcc_lo
	v_cvt_f32_f64_e32 v34, v[34:35]
	s_delay_alu instid0(VALU_DEP_3) | instskip(SKIP_1) | instid1(VALU_DEP_3)
	v_add_co_u32 v4, vcc_lo, v28, s0
	s_wait_alu 0xfffd
	v_add_co_ci_u32_e32 v5, vcc_lo, s1, v29, vcc_lo
	v_cvt_f32_f64_e32 v35, v[36:37]
	v_cvt_f32_f64_e32 v38, v[38:39]
	;; [unrolled: 1-line block ×3, first 2 shown]
	v_add_co_u32 v36, vcc_lo, v4, s0
	s_wait_alu 0xfffd
	v_add_co_ci_u32_e32 v37, vcc_lo, s1, v5, vcc_lo
	v_cvt_f32_f64_e32 v6, v[8:9]
	v_cvt_f32_f64_e32 v7, v[10:11]
	v_add_co_u32 v8, vcc_lo, v36, s0
	s_wait_alu 0xfffd
	v_add_co_ci_u32_e32 v9, vcc_lo, s1, v37, vcc_lo
	v_cvt_f32_f64_e32 v10, v[16:17]
	v_cvt_f32_f64_e32 v11, v[18:19]
	;; [unrolled: 1-line block ×12, first 2 shown]
	v_add_co_u32 v18, vcc_lo, v8, s0
	s_wait_alu 0xfffd
	v_add_co_ci_u32_e32 v19, vcc_lo, s1, v9, vcc_lo
	global_store_b64 v[28:29], v[20:21], off
	v_add_co_u32 v20, vcc_lo, v18, s0
	s_wait_alu 0xfffd
	v_add_co_ci_u32_e32 v21, vcc_lo, s1, v19, vcc_lo
	global_store_b64 v[4:5], v[30:31], off
	;; [unrolled: 4-line block ×7, first 2 shown]
	global_store_b64 v[22:23], v[2:3], off
	global_store_b64 v[8:9], v[16:17], off
	;; [unrolled: 1-line block ×4, first 2 shown]
.LBB0_2:
	s_nop 0
	s_sendmsg sendmsg(MSG_DEALLOC_VGPRS)
	s_endpgm
	.section	.rodata,"a",@progbits
	.p2align	6, 0x0
	.amdhsa_kernel bluestein_single_back_len289_dim1_sp_op_CI_CI
		.amdhsa_group_segment_fixed_size 16184
		.amdhsa_private_segment_fixed_size 0
		.amdhsa_kernarg_size 104
		.amdhsa_user_sgpr_count 2
		.amdhsa_user_sgpr_dispatch_ptr 0
		.amdhsa_user_sgpr_queue_ptr 0
		.amdhsa_user_sgpr_kernarg_segment_ptr 1
		.amdhsa_user_sgpr_dispatch_id 0
		.amdhsa_user_sgpr_private_segment_size 0
		.amdhsa_wavefront_size32 1
		.amdhsa_uses_dynamic_stack 0
		.amdhsa_enable_private_segment 0
		.amdhsa_system_sgpr_workgroup_id_x 1
		.amdhsa_system_sgpr_workgroup_id_y 0
		.amdhsa_system_sgpr_workgroup_id_z 0
		.amdhsa_system_sgpr_workgroup_info 0
		.amdhsa_system_vgpr_workitem_id 0
		.amdhsa_next_free_vgpr 180
		.amdhsa_next_free_sgpr 20
		.amdhsa_reserve_vcc 1
		.amdhsa_float_round_mode_32 0
		.amdhsa_float_round_mode_16_64 0
		.amdhsa_float_denorm_mode_32 3
		.amdhsa_float_denorm_mode_16_64 3
		.amdhsa_fp16_overflow 0
		.amdhsa_workgroup_processor_mode 1
		.amdhsa_memory_ordered 1
		.amdhsa_forward_progress 0
		.amdhsa_round_robin_scheduling 0
		.amdhsa_exception_fp_ieee_invalid_op 0
		.amdhsa_exception_fp_denorm_src 0
		.amdhsa_exception_fp_ieee_div_zero 0
		.amdhsa_exception_fp_ieee_overflow 0
		.amdhsa_exception_fp_ieee_underflow 0
		.amdhsa_exception_fp_ieee_inexact 0
		.amdhsa_exception_int_div_zero 0
	.end_amdhsa_kernel
	.text
.Lfunc_end0:
	.size	bluestein_single_back_len289_dim1_sp_op_CI_CI, .Lfunc_end0-bluestein_single_back_len289_dim1_sp_op_CI_CI
                                        ; -- End function
	.section	.AMDGPU.csdata,"",@progbits
; Kernel info:
; codeLenInByte = 25716
; NumSgprs: 22
; NumVgprs: 180
; ScratchSize: 0
; MemoryBound: 0
; FloatMode: 240
; IeeeMode: 1
; LDSByteSize: 16184 bytes/workgroup (compile time only)
; SGPRBlocks: 2
; VGPRBlocks: 22
; NumSGPRsForWavesPerEU: 22
; NumVGPRsForWavesPerEU: 180
; Occupancy: 8
; WaveLimiterHint : 1
; COMPUTE_PGM_RSRC2:SCRATCH_EN: 0
; COMPUTE_PGM_RSRC2:USER_SGPR: 2
; COMPUTE_PGM_RSRC2:TRAP_HANDLER: 0
; COMPUTE_PGM_RSRC2:TGID_X_EN: 1
; COMPUTE_PGM_RSRC2:TGID_Y_EN: 0
; COMPUTE_PGM_RSRC2:TGID_Z_EN: 0
; COMPUTE_PGM_RSRC2:TIDIG_COMP_CNT: 0
	.text
	.p2alignl 7, 3214868480
	.fill 96, 4, 3214868480
	.type	__hip_cuid_4390d7f266ff40e1,@object ; @__hip_cuid_4390d7f266ff40e1
	.section	.bss,"aw",@nobits
	.globl	__hip_cuid_4390d7f266ff40e1
__hip_cuid_4390d7f266ff40e1:
	.byte	0                               ; 0x0
	.size	__hip_cuid_4390d7f266ff40e1, 1

	.ident	"AMD clang version 19.0.0git (https://github.com/RadeonOpenCompute/llvm-project roc-6.4.0 25133 c7fe45cf4b819c5991fe208aaa96edf142730f1d)"
	.section	".note.GNU-stack","",@progbits
	.addrsig
	.addrsig_sym __hip_cuid_4390d7f266ff40e1
	.amdgpu_metadata
---
amdhsa.kernels:
  - .args:
      - .actual_access:  read_only
        .address_space:  global
        .offset:         0
        .size:           8
        .value_kind:     global_buffer
      - .actual_access:  read_only
        .address_space:  global
        .offset:         8
        .size:           8
        .value_kind:     global_buffer
      - .actual_access:  read_only
        .address_space:  global
        .offset:         16
        .size:           8
        .value_kind:     global_buffer
      - .actual_access:  read_only
        .address_space:  global
        .offset:         24
        .size:           8
        .value_kind:     global_buffer
      - .actual_access:  read_only
        .address_space:  global
        .offset:         32
        .size:           8
        .value_kind:     global_buffer
      - .offset:         40
        .size:           8
        .value_kind:     by_value
      - .address_space:  global
        .offset:         48
        .size:           8
        .value_kind:     global_buffer
      - .address_space:  global
        .offset:         56
        .size:           8
        .value_kind:     global_buffer
      - .address_space:  global
        .offset:         64
        .size:           8
        .value_kind:     global_buffer
      - .address_space:  global
        .offset:         72
        .size:           8
        .value_kind:     global_buffer
      - .offset:         80
        .size:           4
        .value_kind:     by_value
      - .address_space:  global
        .offset:         88
        .size:           8
        .value_kind:     global_buffer
      - .address_space:  global
        .offset:         96
        .size:           8
        .value_kind:     global_buffer
    .group_segment_fixed_size: 16184
    .kernarg_segment_align: 8
    .kernarg_segment_size: 104
    .language:       OpenCL C
    .language_version:
      - 2
      - 0
    .max_flat_workgroup_size: 119
    .name:           bluestein_single_back_len289_dim1_sp_op_CI_CI
    .private_segment_fixed_size: 0
    .sgpr_count:     22
    .sgpr_spill_count: 0
    .symbol:         bluestein_single_back_len289_dim1_sp_op_CI_CI.kd
    .uniform_work_group_size: 1
    .uses_dynamic_stack: false
    .vgpr_count:     180
    .vgpr_spill_count: 0
    .wavefront_size: 32
    .workgroup_processor_mode: 1
amdhsa.target:   amdgcn-amd-amdhsa--gfx1201
amdhsa.version:
  - 1
  - 2
...

	.end_amdgpu_metadata
